;; amdgpu-corpus repo=ROCm/rocFFT kind=compiled arch=gfx1030 opt=O3
	.text
	.amdgcn_target "amdgcn-amd-amdhsa--gfx1030"
	.amdhsa_code_object_version 6
	.protected	bluestein_single_fwd_len1620_dim1_sp_op_CI_CI ; -- Begin function bluestein_single_fwd_len1620_dim1_sp_op_CI_CI
	.globl	bluestein_single_fwd_len1620_dim1_sp_op_CI_CI
	.p2align	8
	.type	bluestein_single_fwd_len1620_dim1_sp_op_CI_CI,@function
bluestein_single_fwd_len1620_dim1_sp_op_CI_CI: ; @bluestein_single_fwd_len1620_dim1_sp_op_CI_CI
; %bb.0:
	s_load_dwordx4 s[12:15], s[4:5], 0x28
	v_mul_u32_u24_e32 v1, 0x195, v0
	v_mov_b32_e32 v85, 0
	s_mov_b32 s0, exec_lo
	v_lshrrev_b32_e32 v1, 16, v1
	v_add_nc_u32_e32 v84, s6, v1
	s_waitcnt lgkmcnt(0)
	v_cmpx_gt_u64_e64 s[12:13], v[84:85]
	s_cbranch_execz .LBB0_34
; %bb.1:
	s_clause 0x1
	s_load_dwordx4 s[8:11], s[4:5], 0x18
	s_load_dwordx4 s[0:3], s[4:5], 0x0
	v_mul_lo_u16 v1, 0xa2, v1
	v_mov_b32_e32 v40, 3
	s_load_dwordx2 s[12:13], s[4:5], 0x38
	v_sub_nc_u16 v0, v0, v1
	v_and_b32_e32 v114, 0xffff, v0
	v_lshlrev_b32_e32 v113, 3, v114
	s_waitcnt lgkmcnt(0)
	s_load_dwordx4 s[16:19], s[8:9], 0x0
	s_clause 0x1
	global_load_dwordx2 v[97:98], v113, s[0:1]
	global_load_dwordx2 v[99:100], v113, s[0:1] offset:1296
	v_add_co_u32 v116, s6, s0, v113
	v_add_co_ci_u32_e64 v115, null, s1, 0, s6
	v_add_nc_u32_e32 v27, 0x800, v113
	v_add_co_u32 v3, vcc_lo, 0x800, v116
	v_add_co_ci_u32_e32 v4, vcc_lo, 0, v115, vcc_lo
	v_add_co_u32 v5, vcc_lo, 0x1000, v116
	v_add_co_ci_u32_e32 v6, vcc_lo, 0, v115, vcc_lo
	v_add_co_u32 v9, vcc_lo, 0x1800, v116
	v_add_co_ci_u32_e32 v10, vcc_lo, 0, v115, vcc_lo
	s_waitcnt lgkmcnt(0)
	v_mad_u64_u32 v[1:2], null, s18, v84, 0
	v_mad_u64_u32 v[7:8], null, s16, v114, 0
	s_clause 0x1
	global_load_dwordx2 v[103:104], v[3:4], off offset:544
	global_load_dwordx2 v[101:102], v[3:4], off offset:1840
	s_mul_i32 s0, s17, 0x510
	s_mul_hi_u32 s1, s16, 0x510
	s_mul_i32 s6, s16, 0x510
	v_mad_u64_u32 v[11:12], null, s19, v84, v[2:3]
	v_mov_b32_e32 v2, v8
	v_add_co_u32 v12, vcc_lo, 0x2000, v116
	v_add_co_ci_u32_e32 v13, vcc_lo, 0, v115, vcc_lo
	v_mad_u64_u32 v[14:15], null, s17, v114, v[2:3]
	v_mov_b32_e32 v2, v11
	v_add_co_u32 v15, vcc_lo, 0x2800, v116
	v_add_co_ci_u32_e32 v16, vcc_lo, 0, v115, vcc_lo
	v_lshlrev_b64 v[1:2], 3, v[1:2]
	v_mov_b32_e32 v8, v14
	s_add_i32 s1, s1, s0
	s_clause 0x3
	global_load_dwordx2 v[91:92], v[5:6], off offset:1088
	global_load_dwordx2 v[93:94], v[9:10], off offset:336
	;; [unrolled: 1-line block ×4, first 2 shown]
	v_lshlrev_b64 v[3:4], 3, v[7:8]
	v_add_co_u32 v1, vcc_lo, s14, v1
	v_add_co_ci_u32_e32 v2, vcc_lo, s15, v2, vcc_lo
	v_add_nc_u32_e32 v28, 0x1c00, v113
	v_add_co_u32 v1, vcc_lo, v1, v3
	v_add_co_ci_u32_e32 v2, vcc_lo, v2, v4, vcc_lo
	v_add_nc_u32_e32 v29, 0x2800, v113
	v_add_co_u32 v3, vcc_lo, v1, s6
	v_add_co_ci_u32_e32 v4, vcc_lo, s1, v2, vcc_lo
	global_load_dwordx2 v[9:10], v[1:2], off
	v_add_co_u32 v5, vcc_lo, v3, s6
	v_add_co_ci_u32_e32 v6, vcc_lo, s1, v4, vcc_lo
	v_add_co_u32 v7, vcc_lo, v5, s6
	v_add_co_ci_u32_e32 v8, vcc_lo, s1, v6, vcc_lo
	s_clause 0x1
	global_load_dwordx2 v[3:4], v[3:4], off
	global_load_dwordx2 v[5:6], v[5:6], off
	v_add_co_u32 v1, vcc_lo, v7, s6
	v_add_co_ci_u32_e32 v2, vcc_lo, s1, v8, vcc_lo
	s_clause 0x1
	global_load_dwordx2 v[7:8], v[7:8], off
	global_load_dwordx2 v[13:14], v[1:2], off
	v_add_co_u32 v11, vcc_lo, v1, s6
	v_add_co_ci_u32_e32 v12, vcc_lo, s1, v2, vcc_lo
	v_add_co_u32 v1, vcc_lo, v11, s6
	v_add_co_ci_u32_e32 v2, vcc_lo, s1, v12, vcc_lo
	global_load_dwordx2 v[11:12], v[11:12], off
	v_add_co_u32 v17, vcc_lo, v1, s6
	v_add_co_ci_u32_e32 v18, vcc_lo, s1, v2, vcc_lo
	global_load_dwordx2 v[19:20], v[1:2], off
	;; [unrolled: 3-line block ×4, first 2 shown]
	s_clause 0x1
	global_load_dwordx2 v[89:90], v[15:16], off offset:128
	global_load_dwordx2 v[95:96], v[15:16], off offset:1424
	global_load_dwordx2 v[15:16], v[21:22], off
	v_add_nc_u32_e32 v1, 0x1400, v113
	s_load_dwordx4 s[8:11], s[10:11], 0x0
	v_cmp_gt_u16_e32 vcc_lo, 54, v0
	s_waitcnt vmcnt(11)
	v_mul_f32_e32 v21, v10, v98
	v_mul_f32_e32 v22, v9, v98
	v_fmac_f32_e32 v21, v9, v97
	v_fma_f32 v22, v10, v97, -v22
	s_waitcnt vmcnt(10)
	v_mul_f32_e32 v2, v4, v100
	s_waitcnt vmcnt(9)
	v_mul_f32_e32 v9, v6, v104
	v_mul_f32_e32 v25, v3, v100
	v_mul_f32_e32 v10, v5, v104
	v_fmac_f32_e32 v2, v3, v99
	v_fmac_f32_e32 v9, v5, v103
	s_waitcnt vmcnt(8)
	v_mul_f32_e32 v5, v7, v102
	v_fma_f32 v3, v4, v99, -v25
	v_mul_f32_e32 v4, v8, v102
	s_waitcnt vmcnt(7)
	v_mul_f32_e32 v25, v14, v92
	v_fma_f32 v10, v6, v103, -v10
	v_mul_f32_e32 v26, v13, v92
	v_fma_f32 v5, v8, v101, -v5
	v_fmac_f32_e32 v4, v7, v101
	v_fmac_f32_e32 v25, v13, v91
	v_fma_f32 v26, v14, v91, -v26
	s_waitcnt vmcnt(6)
	v_mul_f32_e32 v6, v12, v94
	v_mul_f32_e32 v7, v11, v94
	s_waitcnt vmcnt(5)
	v_mul_f32_e32 v8, v19, v88
	v_mul_f32_e32 v13, v20, v88
	v_fmac_f32_e32 v6, v11, v93
	v_fma_f32 v7, v12, v93, -v7
	s_waitcnt vmcnt(4)
	v_mul_f32_e32 v11, v18, v86
	v_fma_f32 v14, v20, v87, -v8
	v_mul_f32_e32 v8, v17, v86
	v_fmac_f32_e32 v13, v19, v87
	s_waitcnt vmcnt(2)
	v_mul_f32_e32 v20, v23, v90
	v_fmac_f32_e32 v11, v17, v85
	v_mul_f32_e32 v17, v24, v90
	s_waitcnt vmcnt(0)
	v_mul_f32_e32 v19, v16, v96
	v_mul_f32_e32 v30, v15, v96
	v_fma_f32 v12, v18, v85, -v8
	v_fma_f32 v18, v24, v89, -v20
	v_fmac_f32_e32 v17, v23, v89
	v_fmac_f32_e32 v19, v15, v95
	v_fma_f32 v20, v16, v95, -v30
	ds_write2_b64 v113, v[21:22], v[2:3] offset1:162
	ds_write2_b64 v27, v[9:10], v[4:5] offset0:68 offset1:230
	ds_write2_b64 v1, v[25:26], v[6:7] offset0:8 offset1:170
	;; [unrolled: 1-line block ×4, first 2 shown]
	v_mul_lo_u16 v18, v0, 10
	s_waitcnt lgkmcnt(0)
	s_barrier
	buffer_gl0_inv
	ds_read2_b64 v[2:5], v113 offset1:162
	ds_read2_b64 v[6:9], v27 offset0:68 offset1:230
	ds_read2_b64 v[10:13], v1 offset0:8 offset1:170
	;; [unrolled: 1-line block ×3, first 2 shown]
	v_lshlrev_b32_sdwa v117, v40, v18 dst_sel:DWORD dst_unused:UNUSED_PAD src0_sel:DWORD src1_sel:WORD_0
	ds_read2_b64 v[18:21], v29 offset0:16 offset1:178
	v_add_nc_u32_e32 v24, 0xa00, v113
	v_add_nc_u32_e32 v25, 0x2000, v113
	s_waitcnt lgkmcnt(0)
	s_barrier
	buffer_gl0_inv
	v_add_f32_e32 v29, v3, v7
	v_add_f32_e32 v37, v5, v9
	;; [unrolled: 1-line block ×6, first 2 shown]
	v_sub_f32_e32 v43, v9, v13
	v_sub_f32_e32 v44, v13, v9
	v_sub_f32_e32 v47, v9, v21
	v_add_f32_e32 v9, v9, v21
	v_add_f32_e32 v22, v2, v6
	v_sub_f32_e32 v26, v11, v15
	v_add_f32_e32 v30, v11, v15
	v_sub_f32_e32 v32, v7, v11
	v_sub_f32_e32 v33, v11, v7
	;; [unrolled: 1-line block ×4, first 2 shown]
	v_add_f32_e32 v7, v7, v19
	v_sub_f32_e32 v56, v17, v21
	v_add_f32_e32 v11, v29, v11
	v_add_f32_e32 v13, v37, v13
	v_fma_f32 v37, -0.5, v48, v4
	v_fma_f32 v4, -0.5, v35, v4
	v_add_f32_e32 v23, v10, v14
	v_sub_f32_e32 v38, v8, v12
	v_sub_f32_e32 v39, v12, v8
	;; [unrolled: 1-line block ×3, first 2 shown]
	v_add_f32_e32 v12, v34, v12
	v_fma_f32 v29, -0.5, v41, v5
	v_fmac_f32_e32 v5, -0.5, v9
	v_sub_f32_e32 v8, v8, v20
	v_sub_f32_e32 v27, v6, v10
	;; [unrolled: 1-line block ×4, first 2 shown]
	v_add_f32_e32 v46, v6, v18
	v_sub_f32_e32 v49, v18, v14
	v_sub_f32_e32 v50, v14, v18
	;; [unrolled: 1-line block ×6, first 2 shown]
	v_add_f32_e32 v10, v22, v10
	v_add_f32_e32 v34, v44, v56
	v_fma_f32 v41, -0.5, v30, v3
	v_fma_f32 v44, -0.5, v7, v3
	v_add_f32_e32 v3, v11, v15
	v_fmamk_f32 v11, v36, 0xbf737871, v37
	v_fmac_f32_e32 v37, 0x3f737871, v36
	v_fmamk_f32 v15, v47, 0x3f737871, v4
	v_fma_f32 v23, -0.5, v23, v2
	v_add_f32_e32 v9, v12, v16
	v_fmamk_f32 v12, v42, 0x3f737871, v5
	v_fmac_f32_e32 v5, 0xbf737871, v42
	v_fmac_f32_e32 v4, 0xbf737871, v47
	v_sub_f32_e32 v55, v21, v17
	v_fmamk_f32 v16, v8, 0xbf737871, v29
	v_fmac_f32_e32 v29, 0x3f737871, v8
	v_sub_f32_e32 v6, v6, v18
	v_add_f32_e32 v22, v39, v54
	v_fma_f32 v39, -0.5, v46, v2
	v_add_f32_e32 v7, v27, v49
	v_add_f32_e32 v27, v28, v50
	;; [unrolled: 1-line block ×5, first 2 shown]
	v_fmac_f32_e32 v37, 0xbf167918, v47
	v_fmac_f32_e32 v15, 0x3f167918, v36
	v_fmamk_f32 v13, v45, 0x3f737871, v23
	v_fmac_f32_e32 v23, 0xbf737871, v45
	v_fmac_f32_e32 v5, 0x3f167918, v8
	;; [unrolled: 1-line block ×5, first 2 shown]
	v_add_f32_e32 v30, v43, v55
	v_fmac_f32_e32 v29, 0x3f167918, v42
	v_fmamk_f32 v14, v26, 0xbf737871, v39
	v_fmac_f32_e32 v39, 0x3f737871, v26
	v_fmamk_f32 v35, v6, 0xbf737871, v41
	v_fmamk_f32 v38, v31, 0x3f737871, v44
	v_fmac_f32_e32 v44, 0xbf737871, v31
	v_add_f32_e32 v17, v2, v18
	v_add_f32_e32 v18, v3, v19
	;; [unrolled: 1-line block ×4, first 2 shown]
	v_fmac_f32_e32 v16, 0xbf167918, v42
	v_fmac_f32_e32 v37, 0x3e9e377a, v22
	;; [unrolled: 1-line block ×11, first 2 shown]
	v_add_f32_e32 v32, v32, v51
	v_fmac_f32_e32 v39, 0xbf167918, v45
	v_fmac_f32_e32 v35, 0xbf167918, v31
	;; [unrolled: 1-line block ×4, first 2 shown]
	v_add_f32_e32 v2, v17, v9
	v_add_f32_e32 v3, v18, v10
	v_sub_f32_e32 v8, v17, v9
	v_sub_f32_e32 v9, v18, v10
	v_fmac_f32_e32 v16, 0x3e9e377a, v30
	v_mul_f32_e32 v6, 0x3e9e377a, v37
	v_mul_f32_e32 v10, 0x3f4f1bbd, v15
	;; [unrolled: 1-line block ×3, first 2 shown]
	v_add_f32_e32 v33, v33, v52
	v_fmac_f32_e32 v14, 0x3f167918, v45
	v_fmac_f32_e32 v13, 0x3e9e377a, v7
	;; [unrolled: 1-line block ×3, first 2 shown]
	v_mul_f32_e32 v7, 0x3e9e377a, v5
	v_mul_f32_e32 v17, 0x3f737871, v12
	;; [unrolled: 1-line block ×4, first 2 shown]
	v_fmac_f32_e32 v41, 0x3f167918, v31
	v_mul_f32_e32 v15, 0x3f4f1bbd, v29
	v_fmac_f32_e32 v39, 0x3e9e377a, v27
	v_fmac_f32_e32 v35, 0x3e9e377a, v32
	v_fma_f32 v5, 0x3f737871, v5, -v6
	v_fmac_f32_e32 v10, 0x3f167918, v16
	v_fmac_f32_e32 v19, 0x3f4f1bbd, v16
	;; [unrolled: 1-line block ×6, first 2 shown]
	v_fma_f32 v11, 0x3f167918, v29, -v18
	v_fmac_f32_e32 v20, 0x3e9e377a, v12
	v_fma_f32 v18, 0xbf737871, v37, -v7
	v_fmac_f32_e32 v41, 0x3e9e377a, v32
	v_fma_f32 v21, 0xbf167918, v4, -v15
	v_add_f32_e32 v4, v13, v10
	v_add_f32_e32 v16, v39, v5
	v_sub_f32_e32 v30, v39, v5
	v_add_f32_e32 v5, v35, v19
	v_sub_f32_e32 v12, v14, v17
	v_add_f32_e32 v14, v14, v17
	v_add_f32_e32 v15, v38, v20
	;; [unrolled: 1-line block ×5, first 2 shown]
	v_sub_f32_e32 v10, v13, v10
	v_sub_f32_e32 v32, v23, v11
	;; [unrolled: 1-line block ×6, first 2 shown]
	ds_write_b128 v117, v[2:5]
	ds_write_b128 v117, v[14:17] offset:16
	ds_write_b128 v117, v[6:9] offset:32
	;; [unrolled: 1-line block ×4, first 2 shown]
	s_waitcnt lgkmcnt(0)
	s_barrier
	buffer_gl0_inv
	ds_read2_b64 v[20:23], v113 offset1:162
	ds_read2_b64 v[16:19], v24 offset0:4 offset1:220
	ds_read2_b64 v[24:27], v25 offset0:56 offset1:218
	;; [unrolled: 1-line block ×3, first 2 shown]
	ds_read_b64 v[34:35], v113 offset:11232
                                        ; implicit-def: $vgpr36
                                        ; implicit-def: $vgpr38
	s_and_saveexec_b32 s0, vcc_lo
	s_cbranch_execz .LBB0_3
; %bb.2:
	ds_read_b64 v[32:33], v113 offset:3888
	ds_read_b64 v[36:37], v113 offset:8208
	;; [unrolled: 1-line block ×3, first 2 shown]
.LBB0_3:
	s_or_b32 exec_lo, exec_lo, s0
	v_and_b32_e32 v0, 0xff, v114
	v_add_co_u32 v52, s0, 0xa2, v114
	v_mov_b32_e32 v1, 0xcccd
	v_add_co_ci_u32_e64 v53, null, 0, 0, s0
	v_mul_lo_u16 v0, 0xcd, v0
	v_add_co_u32 v54, s0, 0x144, v114
	v_add_co_ci_u32_e64 v55, null, 0, 0, s0
	v_lshrrev_b16 v41, 11, v0
	v_mul_u32_u24_sdwa v0, v52, v1 dst_sel:DWORD dst_unused:UNUSED_PAD src0_sel:WORD_0 src1_sel:DWORD
	v_add_co_u32 v129, s0, 0x1e6, v114
	v_mul_u32_u24_sdwa v3, v54, v1 dst_sel:DWORD dst_unused:UNUSED_PAD src0_sel:WORD_0 src1_sel:DWORD
	v_mul_lo_u16 v2, v41, 10
	v_lshrrev_b32_e32 v42, 19, v0
	v_mul_u32_u24_sdwa v0, v129, v1 dst_sel:DWORD dst_unused:UNUSED_PAD src0_sel:WORD_0 src1_sel:DWORD
	v_mov_b32_e32 v47, 30
	v_lshrrev_b32_e32 v43, 19, v3
	v_sub_nc_u16 v2, v114, v2
	v_mul_lo_u16 v1, v42, 10
	v_lshrrev_b32_e32 v118, 19, v0
	v_mul_u32_u24_sdwa v41, v41, v47 dst_sel:DWORD dst_unused:UNUSED_PAD src0_sel:WORD_0 src1_sel:DWORD
	v_mul_lo_u16 v0, v43, 10
	v_and_b32_e32 v45, 0xff, v2
	v_sub_nc_u16 v44, v52, v1
	v_mul_lo_u16 v1, v118, 10
	v_add_co_ci_u32_e64 v130, null, 0, 0, s0
	v_sub_nc_u16 v46, v54, v0
	v_lshlrev_b16 v0, 1, v44
	v_lshlrev_b32_e32 v2, 4, v45
	v_sub_nc_u16 v119, v129, v1
	v_mad_u16 v42, v42, 30, v44
	v_lshlrev_b16 v1, 1, v46
	v_lshlrev_b32_sdwa v0, v40, v0 dst_sel:DWORD dst_unused:UNUSED_PAD src0_sel:DWORD src1_sel:WORD_0
	global_load_dwordx4 v[12:15], v2, s[2:3]
	v_mad_u16 v43, v43, 30, v46
	v_add_lshl_u32 v122, v41, v45, 3
	v_lshlrev_b32_sdwa v1, v40, v1 dst_sel:DWORD dst_unused:UNUSED_PAD src0_sel:DWORD src1_sel:WORD_0
	global_load_dwordx4 v[8:11], v0, s[2:3]
	v_lshlrev_b16 v2, 1, v119
	v_lshlrev_b32_sdwa v121, v40, v42 dst_sel:DWORD dst_unused:UNUSED_PAD src0_sel:DWORD src1_sel:WORD_0
	v_lshlrev_b32_sdwa v120, v40, v43 dst_sel:DWORD dst_unused:UNUSED_PAD src0_sel:DWORD src1_sel:WORD_0
	;; [unrolled: 1-line block ×3, first 2 shown]
	s_clause 0x1
	global_load_dwordx4 v[4:7], v1, s[2:3]
	global_load_dwordx4 v[0:3], v0, s[2:3]
	s_waitcnt vmcnt(0) lgkmcnt(0)
	s_barrier
	buffer_gl0_inv
	v_mul_f32_e32 v40, v19, v13
	v_mul_f32_e32 v41, v18, v13
	;; [unrolled: 1-line block ×8, first 2 shown]
	v_fma_f32 v18, v18, v12, -v40
	v_fmac_f32_e32 v41, v19, v12
	v_fma_f32 v19, v24, v14, -v42
	v_fmac_f32_e32 v43, v25, v14
	v_fma_f32 v24, v28, v8, -v44
	v_mul_f32_e32 v48, v31, v5
	v_mul_f32_e32 v56, v37, v1
	;; [unrolled: 1-line block ×8, first 2 shown]
	v_fmac_f32_e32 v45, v29, v8
	v_fma_f32 v28, v36, v0, -v56
	v_fmac_f32_e32 v57, v37, v0
	v_fma_f32 v29, v38, v2, -v58
	;; [unrolled: 2-line block ×5, first 2 shown]
	v_fmac_f32_e32 v51, v35, v6
	v_add_f32_e32 v31, v18, v19
	v_add_f32_e32 v36, v41, v43
	;; [unrolled: 1-line block ×7, first 2 shown]
	v_sub_f32_e32 v48, v49, v51
	v_add_f32_e32 v50, v17, v49
	v_add_f32_e32 v49, v49, v51
	;; [unrolled: 1-line block ×3, first 2 shown]
	v_sub_f32_e32 v34, v41, v43
	v_add_f32_e32 v35, v21, v41
	v_sub_f32_e32 v37, v18, v19
	v_add_f32_e32 v56, v32, v28
	;; [unrolled: 2-line block ×3, first 2 shown]
	v_sub_f32_e32 v64, v28, v29
	v_fma_f32 v20, -0.5, v31, v20
	v_fma_f32 v21, -0.5, v36, v21
	v_fmac_f32_e32 v32, -0.5, v60
	v_fmac_f32_e32 v33, -0.5, v63
	v_add_f32_e32 v38, v22, v24
	v_sub_f32_e32 v40, v45, v47
	v_add_f32_e32 v41, v23, v45
	v_sub_f32_e32 v44, v24, v25
	v_fma_f32 v22, -0.5, v39, v22
	v_fmac_f32_e32 v23, -0.5, v42
	v_add_f32_e32 v45, v16, v26
	v_sub_f32_e32 v58, v26, v27
	v_fma_f32 v16, -0.5, v46, v16
	v_fmac_f32_e32 v17, -0.5, v49
	v_add_f32_e32 v18, v30, v19
	v_add_f32_e32 v19, v35, v43
	;; [unrolled: 1-line block ×4, first 2 shown]
	v_fmamk_f32 v28, v34, 0x3f5db3d7, v20
	v_fmamk_f32 v29, v37, 0xbf5db3d7, v21
	;; [unrolled: 1-line block ×3, first 2 shown]
	v_fmac_f32_e32 v32, 0xbf5db3d7, v61
	v_fmamk_f32 v43, v64, 0xbf5db3d7, v33
	v_fmac_f32_e32 v33, 0x3f5db3d7, v64
	v_fmac_f32_e32 v20, 0xbf5db3d7, v34
	;; [unrolled: 1-line block ×3, first 2 shown]
	v_add_f32_e32 v24, v38, v25
	v_add_f32_e32 v25, v41, v47
	v_fmamk_f32 v30, v40, 0x3f5db3d7, v22
	v_fmamk_f32 v31, v44, 0xbf5db3d7, v23
	v_fmac_f32_e32 v22, 0xbf5db3d7, v40
	v_fmac_f32_e32 v23, 0x3f5db3d7, v44
	v_add_f32_e32 v26, v45, v27
	v_add_f32_e32 v27, v50, v51
	v_fmamk_f32 v34, v48, 0x3f5db3d7, v16
	v_fmamk_f32 v35, v58, 0xbf5db3d7, v17
	v_fmac_f32_e32 v16, 0xbf5db3d7, v48
	v_fmac_f32_e32 v17, 0x3f5db3d7, v58
	ds_write2_b64 v122, v[18:19], v[28:29] offset1:10
	ds_write_b64 v122, v[20:21] offset:160
	ds_write2_b64 v121, v[24:25], v[30:31] offset1:10
	ds_write_b64 v121, v[22:23] offset:160
	ds_write2_b64 v120, v[26:27], v[34:35] offset1:10
	ds_write_b64 v120, v[16:17] offset:160
	s_and_saveexec_b32 s0, vcc_lo
	s_cbranch_execz .LBB0_5
; %bb.4:
	v_mad_u16 v16, v118, 30, v119
	v_mov_b32_e32 v17, 3
	v_lshlrev_b32_sdwa v16, v17, v16 dst_sel:DWORD dst_unused:UNUSED_PAD src0_sel:DWORD src1_sel:WORD_0
	ds_write2_b64 v16, v[56:57], v[42:43] offset1:10
	ds_write_b64 v16, v[32:33] offset:160
.LBB0_5:
	s_or_b32 exec_lo, exec_lo, s0
	v_add_nc_u32_e32 v16, 0xa00, v113
	v_add_nc_u32_e32 v17, 0x2000, v113
	;; [unrolled: 1-line block ×3, first 2 shown]
	s_waitcnt lgkmcnt(0)
	s_barrier
	buffer_gl0_inv
	ds_read2_b64 v[34:37], v113 offset1:162
	ds_read2_b64 v[44:47], v16 offset0:4 offset1:220
	ds_read2_b64 v[48:51], v17 offset0:56 offset1:218
	;; [unrolled: 1-line block ×3, first 2 shown]
	ds_read_b64 v[58:59], v113 offset:11232
	s_and_saveexec_b32 s0, vcc_lo
	s_cbranch_execz .LBB0_7
; %bb.6:
	ds_read_b64 v[56:57], v113 offset:3888
	ds_read_b64 v[42:43], v113 offset:8208
	;; [unrolled: 1-line block ×3, first 2 shown]
.LBB0_7:
	s_or_b32 exec_lo, exec_lo, s0
	v_and_b32_e32 v16, 0xff, v114
	v_mov_b32_e32 v17, 0x8889
	v_mov_b32_e32 v69, 0x5a
	;; [unrolled: 1-line block ×3, first 2 shown]
	v_mul_lo_u16 v16, 0x89, v16
	v_mul_u32_u24_sdwa v18, v52, v17 dst_sel:DWORD dst_unused:UNUSED_PAD src0_sel:WORD_0 src1_sel:DWORD
	v_mul_u32_u24_sdwa v19, v54, v17 dst_sel:DWORD dst_unused:UNUSED_PAD src0_sel:WORD_0 src1_sel:DWORD
	;; [unrolled: 1-line block ×3, first 2 shown]
	v_lshrrev_b16 v60, 12, v16
	v_lshrrev_b32_e32 v61, 20, v18
	v_lshrrev_b32_e32 v62, 20, v19
	;; [unrolled: 1-line block ×3, first 2 shown]
	v_mul_lo_u16 v16, v60, 30
	v_mul_lo_u16 v17, v61, 30
	;; [unrolled: 1-line block ×4, first 2 shown]
	v_mul_u32_u24_sdwa v60, v60, v69 dst_sel:DWORD dst_unused:UNUSED_PAD src0_sel:WORD_0 src1_sel:DWORD
	v_sub_nc_u16 v16, v114, v16
	v_sub_nc_u16 v64, v52, v17
	;; [unrolled: 1-line block ×4, first 2 shown]
	v_and_b32_e32 v68, 0xff, v16
	v_lshlrev_b16 v16, 4, v64
	v_lshlrev_b16 v17, 4, v65
	;; [unrolled: 1-line block ×3, first 2 shown]
	v_mad_u16 v61, 0x5a, v61, v64
	v_lshlrev_b32_e32 v19, 4, v68
	v_and_b32_e32 v16, 0xffff, v16
	v_and_b32_e32 v20, 0xffff, v17
	;; [unrolled: 1-line block ×3, first 2 shown]
	v_mad_u16 v62, 0x5a, v62, v65
	global_load_dwordx4 v[28:31], v19, s[2:3] offset:160
	v_add_co_u32 v16, s0, s2, v16
	v_add_co_ci_u32_e64 v17, null, s3, 0, s0
	v_add_co_u32 v18, s0, s2, v20
	v_mad_u16 v123, 0x5a, v63, v67
	global_load_dwordx4 v[24:27], v[16:17], off offset:160
	v_add_co_ci_u32_e64 v19, null, s3, 0, s0
	v_add_co_u32 v16, s0, s2, v21
	v_add_co_ci_u32_e64 v17, null, s3, 0, s0
	s_clause 0x1
	global_load_dwordx4 v[20:23], v[18:19], off offset:160
	global_load_dwordx4 v[16:19], v[16:17], off offset:160
	v_add_lshl_u32 v126, v60, v68, 3
	v_lshlrev_b32_sdwa v125, v66, v61 dst_sel:DWORD dst_unused:UNUSED_PAD src0_sel:DWORD src1_sel:WORD_0
	v_lshlrev_b32_sdwa v124, v66, v62 dst_sel:DWORD dst_unused:UNUSED_PAD src0_sel:DWORD src1_sel:WORD_0
	s_waitcnt vmcnt(0) lgkmcnt(0)
	s_barrier
	buffer_gl0_inv
	v_mul_f32_e32 v60, v47, v29
	v_mul_f32_e32 v61, v46, v29
	;; [unrolled: 1-line block ×4, first 2 shown]
	v_fma_f32 v46, v46, v28, -v60
	v_fmac_f32_e32 v61, v47, v28
	v_fma_f32 v47, v48, v30, -v62
	v_fmac_f32_e32 v63, v49, v30
	v_mul_f32_e32 v48, v39, v25
	v_mul_f32_e32 v49, v38, v25
	;; [unrolled: 1-line block ×4, first 2 shown]
	v_fma_f32 v38, v38, v24, -v48
	v_fmac_f32_e32 v49, v39, v24
	v_mul_f32_e32 v64, v41, v21
	v_mul_f32_e32 v65, v40, v21
	v_mul_f32_e32 v67, v59, v23
	v_mul_f32_e32 v68, v58, v23
	v_mul_f32_e32 v69, v43, v17
	v_mul_f32_e32 v70, v42, v17
	v_mul_f32_e32 v71, v33, v19
	v_mul_f32_e32 v72, v32, v19
	v_fma_f32 v48, v50, v26, -v60
	v_fma_f32 v39, v40, v20, -v64
	v_fmac_f32_e32 v65, v41, v20
	v_fma_f32 v50, v58, v22, -v67
	v_fmac_f32_e32 v68, v59, v22
	;; [unrolled: 2-line block ×4, first 2 shown]
	v_add_f32_e32 v33, v46, v47
	v_add_f32_e32 v43, v35, v61
	v_fmac_f32_e32 v62, v51, v26
	v_add_f32_e32 v32, v34, v46
	v_add_f32_e32 v51, v61, v63
	v_sub_f32_e32 v41, v61, v63
	v_fma_f32 v34, -0.5, v33, v34
	v_add_f32_e32 v33, v43, v63
	v_add_f32_e32 v61, v39, v50
	v_sub_f32_e32 v63, v65, v68
	v_add_f32_e32 v64, v45, v65
	v_add_f32_e32 v65, v65, v68
	;; [unrolled: 1-line block ×3, first 2 shown]
	v_sub_f32_e32 v73, v70, v72
	v_add_f32_e32 v74, v57, v70
	v_add_f32_e32 v70, v70, v72
	v_sub_f32_e32 v46, v46, v47
	v_add_f32_e32 v32, v32, v47
	v_fma_f32 v35, -0.5, v51, v35
	v_add_f32_e32 v47, v38, v48
	v_sub_f32_e32 v51, v49, v62
	v_add_f32_e32 v58, v37, v49
	v_add_f32_e32 v49, v49, v62
	;; [unrolled: 1-line block ×3, first 2 shown]
	v_sub_f32_e32 v67, v39, v50
	v_add_f32_e32 v69, v56, v40
	v_sub_f32_e32 v75, v40, v42
	v_fma_f32 v44, -0.5, v61, v44
	v_fmac_f32_e32 v45, -0.5, v65
	v_fmac_f32_e32 v56, -0.5, v71
	;; [unrolled: 1-line block ×3, first 2 shown]
	v_add_f32_e32 v43, v36, v38
	v_sub_f32_e32 v59, v38, v48
	v_fma_f32 v36, -0.5, v47, v36
	v_fmac_f32_e32 v37, -0.5, v49
	v_fmamk_f32 v38, v41, 0x3f5db3d7, v34
	v_fmac_f32_e32 v34, 0xbf5db3d7, v41
	v_fmamk_f32 v39, v46, 0xbf5db3d7, v35
	v_fmac_f32_e32 v35, 0x3f5db3d7, v46
	v_add_f32_e32 v41, v58, v62
	v_add_f32_e32 v46, v60, v50
	v_add_f32_e32 v47, v64, v68
	v_add_f32_e32 v60, v69, v42
	v_add_f32_e32 v61, v74, v72
	v_fmamk_f32 v62, v63, 0x3f5db3d7, v44
	v_fmac_f32_e32 v44, 0xbf5db3d7, v63
	v_fmamk_f32 v63, v67, 0xbf5db3d7, v45
	v_fmac_f32_e32 v45, 0x3f5db3d7, v67
	;; [unrolled: 2-line block ×4, first 2 shown]
	v_add_f32_e32 v40, v43, v48
	v_fmamk_f32 v42, v51, 0x3f5db3d7, v36
	v_fmamk_f32 v43, v59, 0xbf5db3d7, v37
	v_fmac_f32_e32 v36, 0xbf5db3d7, v51
	v_fmac_f32_e32 v37, 0x3f5db3d7, v59
	ds_write2_b64 v126, v[32:33], v[38:39] offset1:30
	ds_write_b64 v126, v[34:35] offset:480
	ds_write2_b64 v125, v[40:41], v[42:43] offset1:30
	ds_write_b64 v125, v[36:37] offset:480
	;; [unrolled: 2-line block ×3, first 2 shown]
	s_and_saveexec_b32 s0, vcc_lo
	s_cbranch_execz .LBB0_9
; %bb.8:
	v_lshlrev_b32_sdwa v32, v66, v123 dst_sel:DWORD dst_unused:UNUSED_PAD src0_sel:DWORD src1_sel:WORD_0
	ds_write2_b64 v32, v[60:61], v[64:65] offset1:30
	ds_write_b64 v32, v[56:57] offset:480
.LBB0_9:
	s_or_b32 exec_lo, exec_lo, s0
	s_waitcnt lgkmcnt(0)
	s_barrier
	buffer_gl0_inv
	ds_read_b64 v[58:59], v113
	ds_read_b64 v[74:75], v113 offset:2160
	ds_read_b64 v[72:73], v113 offset:4320
	;; [unrolled: 1-line block ×5, first 2 shown]
	v_cmp_gt_u16_e64 s0, 0x6c, v114
	s_and_saveexec_b32 s1, s0
	s_cbranch_execz .LBB0_11
; %bb.10:
	ds_read_b64 v[46:47], v113 offset:1296
	ds_read_b64 v[62:63], v113 offset:3456
	;; [unrolled: 1-line block ×6, first 2 shown]
.LBB0_11:
	s_or_b32 exec_lo, exec_lo, s1
	v_add_nc_u32_e32 v32, 0xffffffa6, v114
	v_cmp_gt_u16_e64 s1, 0x5a, v114
	v_mov_b32_e32 v34, 0x2d83
	v_cndmask_b32_e64 v78, v32, v114, s1
	v_mul_u32_u24_sdwa v34, v52, v34 dst_sel:DWORD dst_unused:UNUSED_PAD src0_sel:WORD_0 src1_sel:DWORD
	v_mul_i32_i24_e32 v32, 40, v78
	v_mul_hi_i32_i24_e32 v33, 40, v78
	v_lshrrev_b32_e32 v79, 20, v34
	v_add_co_u32 v32, s1, s2, v32
	v_add_co_ci_u32_e64 v33, s1, s3, v33, s1
	s_clause 0x2
	global_load_dwordx4 v[48:51], v[32:33], off offset:640
	global_load_dwordx4 v[40:43], v[32:33], off offset:656
	global_load_dwordx2 v[107:108], v[32:33], off offset:672
	v_mul_lo_u16 v32, 0x5a, v79
	v_sub_nc_u16 v111, v52, v32
	v_mul_lo_u16 v32, v111, 40
	v_and_b32_e32 v32, 0xffff, v32
	v_add_co_u32 v76, s1, s2, v32
	v_add_co_ci_u32_e64 v77, null, s3, 0, s1
	s_clause 0x2
	global_load_dwordx4 v[36:39], v[76:77], off offset:640
	global_load_dwordx4 v[32:35], v[76:77], off offset:656
	global_load_dwordx2 v[105:106], v[76:77], off offset:672
	v_cmp_lt_u16_e64 s1, 0x59, v114
	s_waitcnt vmcnt(0) lgkmcnt(0)
	s_barrier
	buffer_gl0_inv
	v_cndmask_b32_e64 v76, 0, 0x21c, s1
	v_add_lshl_u32 v127, v78, v76, 3
	v_add_nc_u32_e32 v76, 0x400, v127
	v_add_nc_u32_e32 v77, 0x800, v127
	v_mul_f32_e32 v81, v73, v51
	v_mul_f32_e32 v83, v71, v41
	;; [unrolled: 1-line block ×10, first 2 shown]
	v_fma_f32 v72, v72, v50, -v81
	v_fma_f32 v70, v70, v40, -v83
	;; [unrolled: 1-line block ×5, first 2 shown]
	v_fmac_f32_e32 v80, v75, v48
	v_fmac_f32_e32 v82, v73, v50
	;; [unrolled: 1-line block ×5, first 2 shown]
	v_add_f32_e32 v69, v72, v68
	v_add_f32_e32 v81, v70, v66
	;; [unrolled: 1-line block ×3, first 2 shown]
	v_sub_f32_e32 v71, v82, v112
	v_add_f32_e32 v73, v59, v82
	v_add_f32_e32 v75, v82, v112
	;; [unrolled: 1-line block ×3, first 2 shown]
	v_sub_f32_e32 v82, v109, v131
	v_add_f32_e32 v83, v80, v109
	v_add_f32_e32 v109, v109, v131
	v_fma_f32 v58, -0.5, v69, v58
	v_fmac_f32_e32 v74, -0.5, v81
	v_sub_f32_e32 v72, v72, v68
	v_sub_f32_e32 v70, v70, v66
	v_add_f32_e32 v69, v73, v112
	v_fmac_f32_e32 v59, -0.5, v75
	v_add_f32_e32 v73, v78, v66
	v_add_f32_e32 v75, v83, v131
	v_fmac_f32_e32 v80, -0.5, v109
	v_mul_f32_e32 v78, v63, v37
	v_mul_f32_e32 v81, v62, v37
	;; [unrolled: 1-line block ×9, first 2 shown]
	v_fmamk_f32 v134, v71, 0x3f5db3d7, v58
	v_fmac_f32_e32 v58, 0xbf5db3d7, v71
	v_fmamk_f32 v71, v82, 0x3f5db3d7, v74
	v_fmac_f32_e32 v74, 0xbf5db3d7, v82
	v_mul_f32_e32 v131, v64, v35
	v_fmamk_f32 v135, v72, 0xbf5db3d7, v59
	v_fmac_f32_e32 v59, 0x3f5db3d7, v72
	v_fmamk_f32 v72, v70, 0xbf5db3d7, v80
	v_fmac_f32_e32 v80, 0x3f5db3d7, v70
	v_fma_f32 v78, v62, v36, -v78
	v_fmac_f32_e32 v81, v63, v36
	v_fma_f32 v44, v44, v38, -v83
	;; [unrolled: 2-line block ×4, first 2 shown]
	v_fma_f32 v61, v56, v105, -v132
	v_mul_f32_e32 v62, -0.5, v74
	v_fmac_f32_e32 v133, v57, v105
	v_add_f32_e32 v68, v67, v68
	v_add_f32_e32 v67, v69, v75
	v_sub_f32_e32 v69, v69, v75
	v_fmac_f32_e32 v131, v65, v34
	v_mul_f32_e32 v56, 0x3f5db3d7, v72
	v_mul_f32_e32 v75, -0.5, v80
	v_fmac_f32_e32 v62, 0x3f5db3d7, v80
	v_add_f32_e32 v80, v44, v60
	v_add_f32_e32 v132, v45, v61
	v_sub_f32_e32 v136, v112, v133
	v_add_f32_e32 v137, v81, v112
	v_add_f32_e32 v112, v112, v133
	v_mul_f32_e32 v63, 0xbf5db3d7, v71
	v_fmac_f32_e32 v56, 0.5, v71
	v_add_f32_e32 v57, v46, v44
	v_sub_f32_e32 v82, v109, v131
	v_add_f32_e32 v83, v47, v109
	v_add_f32_e32 v128, v78, v45
	v_sub_f32_e32 v138, v45, v61
	v_fmac_f32_e32 v46, -0.5, v80
	v_fmac_f32_e32 v78, -0.5, v132
	;; [unrolled: 1-line block ×3, first 2 shown]
	v_fmac_f32_e32 v63, 0.5, v72
	v_fmac_f32_e32 v75, 0xbf5db3d7, v74
	v_add_f32_e32 v109, v109, v131
	v_sub_f32_e32 v110, v44, v60
	v_add_f32_e32 v64, v134, v56
	v_sub_f32_e32 v72, v134, v56
	v_add_f32_e32 v44, v57, v60
	v_add_f32_e32 v56, v83, v131
	v_fmamk_f32 v57, v82, 0x3f5db3d7, v46
	v_fmac_f32_e32 v46, 0xbf5db3d7, v82
	v_fmamk_f32 v82, v136, 0x3f5db3d7, v78
	v_fmamk_f32 v83, v138, 0xbf5db3d7, v81
	v_fmac_f32_e32 v78, 0xbf5db3d7, v136
	v_fmac_f32_e32 v81, 0x3f5db3d7, v138
	v_add_f32_e32 v66, v68, v73
	v_sub_f32_e32 v68, v68, v73
	v_add_f32_e32 v70, v58, v62
	v_add_f32_e32 v65, v135, v63
	;; [unrolled: 1-line block ×3, first 2 shown]
	v_sub_f32_e32 v74, v58, v62
	v_sub_f32_e32 v73, v135, v63
	;; [unrolled: 1-line block ×3, first 2 shown]
	v_fmac_f32_e32 v47, -0.5, v109
	v_add_f32_e32 v45, v128, v61
	v_mul_f32_e32 v59, 0x3f5db3d7, v83
	v_mul_f32_e32 v61, -0.5, v78
	v_mul_f32_e32 v62, 0xbf5db3d7, v82
	v_mul_f32_e32 v63, -0.5, v81
	v_add_f32_e32 v58, v137, v133
	v_fmamk_f32 v60, v110, 0xbf5db3d7, v47
	v_fmac_f32_e32 v47, 0x3f5db3d7, v110
	v_fmac_f32_e32 v59, 0.5, v82
	v_fmac_f32_e32 v61, 0x3f5db3d7, v81
	v_fmac_f32_e32 v62, 0.5, v83
	v_fmac_f32_e32 v63, 0xbf5db3d7, v78
	v_sub_f32_e32 v80, v44, v45
	v_sub_f32_e32 v81, v56, v58
	;; [unrolled: 1-line block ×6, first 2 shown]
	v_mad_u16 v128, 0x21c, v79, v111
	ds_write2_b64 v127, v[66:67], v[64:65] offset1:90
	ds_write2_b64 v76, v[70:71], v[68:69] offset0:52 offset1:142
	ds_write2_b64 v77, v[72:73], v[74:75] offset0:104 offset1:194
	s_and_saveexec_b32 s1, s0
	s_cbranch_execz .LBB0_13
; %bb.12:
	v_mov_b32_e32 v64, 3
	v_add_f32_e32 v60, v60, v62
	v_add_f32_e32 v58, v56, v58
	;; [unrolled: 1-line block ×4, first 2 shown]
	v_lshlrev_b32_sdwa v62, v64, v128 dst_sel:DWORD dst_unused:UNUSED_PAD src0_sel:DWORD src1_sel:WORD_0
	v_add_f32_e32 v47, v47, v63
	v_add_f32_e32 v46, v46, v61
	v_add_nc_u32_e32 v44, 0x400, v62
	v_add_nc_u32_e32 v45, 0x800, v62
	ds_write2_b64 v62, v[57:58], v[59:60] offset1:90
	ds_write2_b64 v44, v[46:47], v[80:81] offset0:52 offset1:142
	ds_write2_b64 v45, v[82:83], v[109:110] offset0:104 offset1:194
.LBB0_13:
	s_or_b32 exec_lo, exec_lo, s1
	v_add_nc_u32_e32 v44, 0xa00, v113
	v_add_nc_u32_e32 v45, 0x2000, v113
	;; [unrolled: 1-line block ×3, first 2 shown]
	s_waitcnt lgkmcnt(0)
	s_barrier
	buffer_gl0_inv
	ds_read2_b64 v[68:71], v113 offset1:162
	ds_read2_b64 v[64:67], v44 offset0:4 offset1:220
	ds_read2_b64 v[76:79], v45 offset0:56 offset1:218
	;; [unrolled: 1-line block ×3, first 2 shown]
	ds_read_b64 v[111:112], v113 offset:11232
	s_and_saveexec_b32 s1, vcc_lo
	s_cbranch_execz .LBB0_15
; %bb.14:
	ds_read_b64 v[80:81], v113 offset:3888
	ds_read_b64 v[82:83], v113 offset:8208
	;; [unrolled: 1-line block ×3, first 2 shown]
.LBB0_15:
	s_or_b32 exec_lo, exec_lo, s1
	v_lshlrev_b32_e32 v46, 4, v114
	v_lshlrev_b64 v[44:45], 4, v[52:53]
	v_add_co_u32 v52, s1, s2, v46
	v_add_co_ci_u32_e64 v53, null, s3, 0, s1
	v_lshlrev_b64 v[46:47], 4, v[54:55]
	v_add_co_u32 v52, s1, 0x1000, v52
	v_add_co_ci_u32_e64 v53, s1, 0, v53, s1
	v_add_co_u32 v44, s1, s2, v44
	v_add_co_ci_u32_e64 v45, s1, s3, v45, s1
	global_load_dwordx4 v[56:59], v[52:53], off offset:144
	v_add_co_u32 v44, s1, 0x1000, v44
	v_add_co_ci_u32_e64 v45, s1, 0, v45, s1
	v_add_co_u32 v46, s1, s2, v46
	v_add_co_ci_u32_e64 v47, s1, s3, v47, s1
	global_load_dwordx4 v[60:63], v[44:45], off offset:144
	v_add_co_u32 v52, s1, 0xffffffca, v114
	v_add_co_ci_u32_e64 v53, null, 0, -1, s1
	v_add_co_u32 v46, s1, 0x1000, v46
	v_cndmask_b32_e32 v44, v52, v129, vcc_lo
	v_cndmask_b32_e32 v45, v53, v130, vcc_lo
	v_add_co_ci_u32_e64 v47, s1, 0, v47, s1
	v_lshlrev_b64 v[44:45], 4, v[44:45]
	global_load_dwordx4 v[52:55], v[46:47], off offset:144
	v_add_co_u32 v44, s1, s2, v44
	v_add_co_ci_u32_e64 v45, s1, s3, v45, s1
	v_add_co_u32 v44, s1, 0x1000, v44
	v_add_co_ci_u32_e64 v45, s1, 0, v45, s1
	global_load_dwordx4 v[44:47], v[44:45], off offset:144
	s_waitcnt vmcnt(3) lgkmcnt(3)
	v_mul_f32_e32 v129, v67, v57
	v_mul_f32_e32 v130, v66, v57
	s_waitcnt lgkmcnt(2)
	v_mul_f32_e32 v132, v77, v59
	v_mul_f32_e32 v133, v76, v59
	v_fma_f32 v66, v66, v56, -v129
	v_fmac_f32_e32 v130, v67, v56
	v_fma_f32 v76, v76, v58, -v132
	v_fmac_f32_e32 v133, v77, v58
	s_waitcnt vmcnt(2) lgkmcnt(1)
	v_mul_f32_e32 v134, v73, v61
	v_mul_f32_e32 v135, v72, v61
	;; [unrolled: 1-line block ×4, first 2 shown]
	v_sub_f32_e32 v129, v66, v76
	v_fma_f32 v72, v72, v60, -v134
	v_fmac_f32_e32 v135, v73, v60
	v_fma_f32 v77, v78, v62, -v136
	v_fmac_f32_e32 v137, v79, v62
	v_add_f32_e32 v79, v69, v130
	v_add_f32_e32 v134, v70, v72
	;; [unrolled: 1-line block ×3, first 2 shown]
	v_sub_f32_e32 v142, v72, v77
	s_waitcnt vmcnt(1)
	v_mul_f32_e32 v138, v75, v53
	v_mul_f32_e32 v139, v74, v53
	s_waitcnt lgkmcnt(0)
	v_mul_f32_e32 v140, v112, v55
	v_mul_f32_e32 v141, v111, v55
	v_fma_f32 v70, -0.5, v136, v70
	v_fma_f32 v73, v74, v52, -v138
	v_fmac_f32_e32 v139, v75, v52
	v_fma_f32 v78, v111, v54, -v140
	v_fmac_f32_e32 v141, v112, v54
	v_add_f32_e32 v74, v68, v66
	v_add_f32_e32 v75, v66, v76
	v_sub_f32_e32 v111, v130, v133
	v_add_f32_e32 v112, v130, v133
	v_sub_f32_e32 v138, v135, v137
	v_add_f32_e32 v72, v74, v76
	v_fma_f32 v74, -0.5, v75, v68
	v_add_f32_e32 v140, v71, v135
	s_waitcnt vmcnt(0)
	v_mul_f32_e32 v130, v83, v45
	v_mul_f32_e32 v67, v82, v45
	;; [unrolled: 1-line block ×4, first 2 shown]
	v_fma_f32 v75, -0.5, v112, v69
	v_fma_f32 v68, v82, v44, -v130
	v_fmac_f32_e32 v67, v83, v44
	v_fma_f32 v69, v109, v46, -v132
	v_fmac_f32_e32 v66, v110, v46
	v_add_f32_e32 v135, v135, v137
	v_add_f32_e32 v144, v73, v78
	v_sub_f32_e32 v145, v139, v141
	v_add_f32_e32 v109, v68, v69
	v_add_f32_e32 v110, v67, v66
	;; [unrolled: 1-line block ×5, first 2 shown]
	v_sub_f32_e32 v112, v67, v66
	v_fma_f32 v109, -0.5, v109, v80
	v_sub_f32_e32 v134, v68, v69
	v_fma_f32 v110, -0.5, v110, v81
	v_fmac_f32_e32 v71, -0.5, v135
	v_add_f32_e32 v143, v64, v73
	v_sub_f32_e32 v147, v73, v78
	v_fma_f32 v64, -0.5, v144, v64
	v_fmac_f32_e32 v65, -0.5, v139
	v_add_f32_e32 v73, v79, v133
	v_add_f32_e32 v77, v140, v137
	v_fmamk_f32 v82, v111, 0x3f5db3d7, v74
	v_fmac_f32_e32 v74, 0xbf5db3d7, v111
	v_fmamk_f32 v83, v129, 0xbf5db3d7, v75
	v_fmamk_f32 v111, v112, 0x3f5db3d7, v109
	v_fmac_f32_e32 v109, 0xbf5db3d7, v112
	v_fmamk_f32 v112, v134, 0xbf5db3d7, v110
	v_fmac_f32_e32 v110, 0x3f5db3d7, v134
	v_fmac_f32_e32 v75, 0x3f5db3d7, v129
	v_fmamk_f32 v129, v138, 0x3f5db3d7, v70
	v_fmac_f32_e32 v70, 0xbf5db3d7, v138
	v_fmamk_f32 v130, v142, 0xbf5db3d7, v71
	v_fmac_f32_e32 v71, 0x3f5db3d7, v142
	v_add_f32_e32 v78, v143, v78
	v_add_f32_e32 v79, v146, v141
	v_fmamk_f32 v132, v145, 0x3f5db3d7, v64
	v_fmamk_f32 v133, v147, 0xbf5db3d7, v65
	v_fmac_f32_e32 v64, 0xbf5db3d7, v145
	v_fmac_f32_e32 v65, 0x3f5db3d7, v147
	ds_write_b64 v113, v[82:83] offset:4320
	ds_write_b64 v113, v[74:75] offset:8640
	ds_write2_b64 v113, v[72:73], v[76:77] offset1:162
	ds_write_b64 v113, v[70:71] offset:9936
	ds_write_b64 v113, v[78:79] offset:2592
	ds_write2_b64 v131, v[129:130], v[132:133] offset0:62 offset1:224
	ds_write_b64 v113, v[64:65] offset:11232
	s_and_saveexec_b32 s1, vcc_lo
	s_cbranch_execz .LBB0_17
; %bb.16:
	v_add_f32_e32 v64, v81, v67
	v_add_f32_e32 v67, v80, v68
	;; [unrolled: 1-line block ×4, first 2 shown]
	ds_write_b64 v113, v[111:112] offset:8208
	ds_write_b64 v113, v[64:65] offset:3888
	;; [unrolled: 1-line block ×3, first 2 shown]
.LBB0_17:
	s_or_b32 exec_lo, exec_lo, s1
	v_add_co_u32 v64, s1, 0x3000, v116
	v_add_co_ci_u32_e64 v65, s1, 0, v115, s1
	v_add_co_u32 v66, s1, 0x32a0, v116
	v_add_co_ci_u32_e64 v67, s1, 0, v115, s1
	s_waitcnt lgkmcnt(0)
	s_barrier
	buffer_gl0_inv
	s_clause 0x1
	global_load_dwordx2 v[68:69], v[64:65], off offset:672
	global_load_dwordx2 v[70:71], v[66:67], off offset:1296
	v_add_co_u32 v64, s1, 0x3800, v116
	v_add_co_u32 v66, s2, 0x4000, v116
	;; [unrolled: 1-line block ×3, first 2 shown]
	v_add_co_ci_u32_e64 v65, s1, 0, v115, s1
	v_add_co_u32 v74, s4, 0x5000, v116
	v_add_co_ci_u32_e64 v67, s1, 0, v115, s2
	v_add_co_u32 v76, s5, 0x5800, v116
	;; [unrolled: 2-line block ×3, first 2 shown]
	v_add_co_ci_u32_e64 v75, s1, 0, v115, s4
	v_add_co_ci_u32_e64 v77, s1, 0, v115, s5
	global_load_dwordx2 v[80:81], v[64:65], off offset:1216
	v_add_co_ci_u32_e64 v79, s1, 0, v115, s6
	s_clause 0x6
	global_load_dwordx2 v[82:83], v[66:67], off offset:464
	global_load_dwordx2 v[129:130], v[66:67], off offset:1760
	;; [unrolled: 1-line block ×7, first 2 shown]
	ds_read2_b64 v[64:67], v113 offset1:162
	v_add_nc_u32_e32 v140, 0x800, v113
	v_add_nc_u32_e32 v141, 0x1400, v113
	;; [unrolled: 1-line block ×4, first 2 shown]
	s_waitcnt vmcnt(9) lgkmcnt(0)
	v_mul_f32_e32 v73, v65, v69
	v_mul_f32_e32 v72, v64, v69
	s_waitcnt vmcnt(8)
	v_mul_f32_e32 v74, v67, v71
	v_mul_f32_e32 v69, v66, v71
	v_fma_f32 v71, v64, v68, -v73
	v_fmac_f32_e32 v72, v65, v68
	v_fma_f32 v68, v66, v70, -v74
	v_fmac_f32_e32 v69, v67, v70
	ds_write2_b64 v113, v[71:72], v[68:69] offset1:162
	ds_read2_b64 v[64:67], v140 offset0:68 offset1:230
	ds_read2_b64 v[68:71], v141 offset0:8 offset1:170
	ds_read2_b64 v[72:75], v142 offset0:76 offset1:238
	ds_read2_b64 v[76:79], v143 offset0:16 offset1:178
	s_waitcnt vmcnt(7) lgkmcnt(3)
	v_mul_f32_e32 v144, v65, v81
	v_mul_f32_e32 v139, v64, v81
	s_waitcnt vmcnt(6)
	v_mul_f32_e32 v145, v67, v83
	v_mul_f32_e32 v81, v66, v83
	s_waitcnt vmcnt(5) lgkmcnt(2)
	v_mul_f32_e32 v146, v69, v130
	v_mul_f32_e32 v83, v68, v130
	s_waitcnt vmcnt(4)
	v_mul_f32_e32 v147, v71, v132
	v_mul_f32_e32 v130, v70, v132
	;; [unrolled: 6-line block ×4, first 2 shown]
	v_fma_f32 v138, v64, v80, -v144
	v_fmac_f32_e32 v139, v65, v80
	v_fma_f32 v80, v66, v82, -v145
	v_fmac_f32_e32 v81, v67, v82
	;; [unrolled: 2-line block ×8, first 2 shown]
	ds_write2_b64 v140, v[138:139], v[80:81] offset0:68 offset1:230
	ds_write2_b64 v141, v[82:83], v[129:130] offset0:8 offset1:170
	;; [unrolled: 1-line block ×4, first 2 shown]
	s_waitcnt lgkmcnt(0)
	s_barrier
	buffer_gl0_inv
	ds_read2_b64 v[64:67], v113 offset1:162
	ds_read2_b64 v[68:71], v140 offset0:68 offset1:230
	ds_read2_b64 v[72:75], v141 offset0:8 offset1:170
	;; [unrolled: 1-line block ×4, first 2 shown]
	v_add_nc_u32_e32 v115, 0xa00, v113
	v_add_nc_u32_e32 v116, 0x2000, v113
	s_waitcnt lgkmcnt(0)
	s_barrier
	buffer_gl0_inv
	v_add_f32_e32 v129, v64, v68
	v_sub_f32_e32 v133, v68, v72
	v_add_f32_e32 v130, v72, v76
	v_sub_f32_e32 v134, v80, v76
	v_sub_f32_e32 v136, v72, v68
	;; [unrolled: 1-line block ×3, first 2 shown]
	v_add_f32_e32 v139, v73, v77
	v_add_f32_e32 v146, v66, v70
	;; [unrolled: 1-line block ×6, first 2 shown]
	v_sub_f32_e32 v140, v72, v76
	v_sub_f32_e32 v148, v71, v83
	v_sub_f32_e32 v150, v70, v74
	v_add_f32_e32 v152, v70, v82
	v_sub_f32_e32 v153, v74, v70
	v_sub_f32_e32 v70, v70, v82
	;; [unrolled: 1-line block ×3, first 2 shown]
	v_add_f32_e32 v72, v129, v72
	v_fma_f32 v129, -0.5, v130, v64
	v_add_f32_e32 v130, v133, v134
	v_add_f32_e32 v133, v136, v137
	v_fma_f32 v134, -0.5, v139, v65
	v_add_f32_e32 v74, v146, v74
	v_fma_f32 v136, -0.5, v147, v66
	v_fma_f32 v139, -0.5, v156, v67
	v_add_f32_e32 v138, v65, v69
	v_sub_f32_e32 v149, v75, v79
	v_sub_f32_e32 v158, v71, v75
	;; [unrolled: 1-line block ×3, first 2 shown]
	v_add_f32_e32 v75, v155, v75
	v_fmac_f32_e32 v67, -0.5, v160
	v_add_f32_e32 v135, v68, v80
	v_sub_f32_e32 v142, v69, v73
	v_sub_f32_e32 v143, v81, v77
	;; [unrolled: 1-line block ×5, first 2 shown]
	v_add_f32_e32 v72, v72, v76
	v_add_f32_e32 v74, v74, v78
	v_fmamk_f32 v76, v148, 0xbf737871, v136
	v_fmamk_f32 v78, v70, 0x3f737871, v139
	v_sub_f32_e32 v131, v69, v81
	v_sub_f32_e32 v132, v73, v77
	v_add_f32_e32 v144, v69, v81
	v_sub_f32_e32 v69, v73, v69
	v_sub_f32_e32 v161, v79, v83
	v_add_f32_e32 v73, v138, v73
	v_fma_f32 v66, -0.5, v152, v66
	v_add_f32_e32 v75, v75, v79
	v_fmamk_f32 v79, v157, 0xbf737871, v67
	v_fmac_f32_e32 v67, 0x3f737871, v157
	v_fma_f32 v64, -0.5, v135, v64
	v_fmac_f32_e32 v139, 0xbf737871, v70
	v_sub_f32_e32 v68, v68, v80
	v_sub_f32_e32 v145, v77, v81
	v_add_f32_e32 v135, v142, v143
	v_add_f32_e32 v137, v150, v151
	;; [unrolled: 1-line block ×3, first 2 shown]
	v_fmac_f32_e32 v76, 0xbf167918, v149
	v_fmac_f32_e32 v78, 0x3f167918, v157
	v_fma_f32 v65, -0.5, v144, v65
	v_add_f32_e32 v71, v71, v161
	v_add_f32_e32 v73, v73, v77
	v_fmamk_f32 v77, v149, 0x3f737871, v66
	v_fmac_f32_e32 v66, 0xbf737871, v149
	v_fmac_f32_e32 v79, 0x3f167918, v70
	;; [unrolled: 1-line block ×3, first 2 shown]
	v_fmamk_f32 v143, v131, 0xbf737871, v129
	v_fmac_f32_e32 v129, 0x3f737871, v131
	v_fmamk_f32 v144, v132, 0x3f737871, v64
	v_fmac_f32_e32 v64, 0xbf737871, v132
	v_fmac_f32_e32 v136, 0x3f737871, v148
	;; [unrolled: 1-line block ×3, first 2 shown]
	v_add_f32_e32 v69, v69, v145
	v_fmamk_f32 v145, v68, 0x3f737871, v134
	v_fmac_f32_e32 v76, 0x3e9e377a, v137
	v_fmac_f32_e32 v78, 0x3e9e377a, v142
	v_add_f32_e32 v138, v153, v154
	v_fmamk_f32 v146, v140, 0xbf737871, v65
	v_fmac_f32_e32 v65, 0x3f737871, v140
	v_fmac_f32_e32 v77, 0xbf167918, v148
	;; [unrolled: 1-line block ×12, first 2 shown]
	v_add_f32_e32 v72, v72, v80
	v_fmac_f32_e32 v145, 0x3f167918, v140
	v_mul_f32_e32 v80, 0xbf167918, v78
	v_mul_f32_e32 v131, 0x3f167918, v76
	v_add_f32_e32 v73, v73, v81
	v_fmac_f32_e32 v146, 0x3f167918, v68
	v_fmac_f32_e32 v65, 0xbf167918, v68
	v_add_f32_e32 v75, v75, v83
	v_fmac_f32_e32 v77, 0x3e9e377a, v138
	v_fmac_f32_e32 v66, 0x3e9e377a, v138
	v_mul_f32_e32 v81, 0xbf737871, v79
	v_mul_f32_e32 v83, 0xbf737871, v67
	;; [unrolled: 1-line block ×4, first 2 shown]
	v_fmac_f32_e32 v134, 0xbf167918, v140
	v_fmac_f32_e32 v143, 0x3e9e377a, v130
	;; [unrolled: 1-line block ×6, first 2 shown]
	v_mul_f32_e32 v130, 0xbf167918, v139
	v_mul_f32_e32 v133, 0xbf4f1bbd, v139
	v_add_f32_e32 v74, v74, v82
	v_fmac_f32_e32 v145, 0x3e9e377a, v135
	v_fmac_f32_e32 v80, 0x3f4f1bbd, v76
	;; [unrolled: 1-line block ×12, first 2 shown]
	v_add_f32_e32 v68, v72, v74
	v_add_f32_e32 v69, v73, v75
	v_add_f32_e32 v70, v143, v80
	v_add_f32_e32 v71, v145, v131
	v_add_f32_e32 v76, v144, v81
	v_add_f32_e32 v78, v64, v83
	v_add_f32_e32 v77, v146, v132
	v_add_f32_e32 v79, v65, v67
	v_sub_f32_e32 v74, v72, v74
	v_sub_f32_e32 v75, v73, v75
	v_add_f32_e32 v72, v129, v130
	v_add_f32_e32 v73, v134, v133
	v_sub_f32_e32 v80, v143, v80
	v_sub_f32_e32 v82, v144, v81
	;; [unrolled: 1-line block ×8, first 2 shown]
	ds_write_b128 v117, v[68:71]
	ds_write_b128 v117, v[76:79] offset:16
	ds_write_b128 v117, v[72:75] offset:32
	;; [unrolled: 1-line block ×4, first 2 shown]
	s_waitcnt lgkmcnt(0)
	s_barrier
	buffer_gl0_inv
	ds_read2_b64 v[72:75], v113 offset1:162
	ds_read2_b64 v[68:71], v115 offset0:4 offset1:220
	ds_read2_b64 v[80:83], v116 offset0:56 offset1:218
	;; [unrolled: 1-line block ×3, first 2 shown]
	ds_read_b64 v[64:65], v113 offset:11232
	s_and_saveexec_b32 s1, vcc_lo
	s_cbranch_execz .LBB0_19
; %bb.18:
	ds_read_b64 v[66:67], v113 offset:3888
	ds_read_b64 v[111:112], v113 offset:8208
	;; [unrolled: 1-line block ×3, first 2 shown]
.LBB0_19:
	s_or_b32 exec_lo, exec_lo, s1
	s_waitcnt lgkmcnt(3)
	v_mul_f32_e32 v115, v13, v71
	v_mul_f32_e32 v13, v13, v70
	s_waitcnt lgkmcnt(2)
	v_mul_f32_e32 v116, v15, v81
	v_mul_f32_e32 v15, v15, v80
	s_waitcnt lgkmcnt(0)
	v_fmac_f32_e32 v115, v12, v70
	v_fma_f32 v12, v12, v71, -v13
	v_mul_f32_e32 v13, v9, v77
	v_fmac_f32_e32 v116, v14, v80
	v_mul_f32_e32 v9, v9, v76
	v_fma_f32 v14, v14, v81, -v15
	v_mul_f32_e32 v15, v11, v83
	v_mul_f32_e32 v11, v11, v82
	v_fmac_f32_e32 v13, v8, v76
	v_fma_f32 v8, v8, v77, -v9
	v_mul_f32_e32 v70, v5, v79
	v_mul_f32_e32 v76, v1, v112
	v_fma_f32 v9, v10, v83, -v11
	v_mul_f32_e32 v11, v7, v65
	v_mul_f32_e32 v7, v7, v64
	;; [unrolled: 1-line block ×3, first 2 shown]
	v_fmac_f32_e32 v15, v10, v82
	v_mul_f32_e32 v5, v5, v78
	v_fmac_f32_e32 v11, v6, v64
	v_fma_f32 v64, v6, v65, -v7
	v_mul_f32_e32 v65, v3, v110
	v_mul_f32_e32 v3, v3, v109
	v_fmac_f32_e32 v70, v4, v78
	v_fmac_f32_e32 v76, v0, v111
	v_fma_f32 v77, v0, v112, -v1
	v_add_f32_e32 v0, v115, v116
	v_add_f32_e32 v1, v72, v115
	v_fma_f32 v78, v2, v110, -v3
	v_add_f32_e32 v3, v12, v14
	v_add_f32_e32 v6, v73, v12
	v_fma_f32 v71, v4, v79, -v5
	v_fmac_f32_e32 v65, v2, v109
	v_fma_f32 v0, -0.5, v0, v72
	v_sub_f32_e32 v5, v12, v14
	v_add_f32_e32 v2, v1, v116
	v_fma_f32 v1, -0.5, v3, v73
	v_sub_f32_e32 v7, v115, v116
	v_add_f32_e32 v3, v6, v14
	v_add_f32_e32 v6, v13, v15
	;; [unrolled: 1-line block ×3, first 2 shown]
	v_fmamk_f32 v4, v5, 0xbf5db3d7, v0
	v_fmac_f32_e32 v0, 0x3f5db3d7, v5
	v_fmamk_f32 v5, v7, 0x3f5db3d7, v1
	v_fmac_f32_e32 v1, 0xbf5db3d7, v7
	v_add_f32_e32 v7, v8, v9
	v_fma_f32 v74, -0.5, v6, v74
	v_add_f32_e32 v6, v10, v15
	v_add_f32_e32 v10, v75, v8
	v_sub_f32_e32 v12, v8, v9
	v_fmac_f32_e32 v75, -0.5, v7
	v_sub_f32_e32 v13, v13, v15
	v_sub_f32_e32 v14, v71, v64
	v_add_f32_e32 v7, v10, v9
	v_add_f32_e32 v10, v70, v11
	v_fmamk_f32 v8, v12, 0xbf5db3d7, v74
	v_fmac_f32_e32 v74, 0x3f5db3d7, v12
	v_add_f32_e32 v12, v68, v70
	v_add_f32_e32 v15, v69, v71
	v_fma_f32 v68, -0.5, v10, v68
	v_fmamk_f32 v9, v13, 0x3f5db3d7, v75
	v_fmac_f32_e32 v75, 0xbf5db3d7, v13
	v_add_f32_e32 v13, v71, v64
	v_add_f32_e32 v10, v12, v11
	v_sub_f32_e32 v70, v70, v11
	v_fmamk_f32 v12, v14, 0xbf5db3d7, v68
	v_fmac_f32_e32 v68, 0x3f5db3d7, v14
	v_add_f32_e32 v11, v15, v64
	v_add_f32_e32 v14, v76, v65
	;; [unrolled: 1-line block ×3, first 2 shown]
	v_fmac_f32_e32 v69, -0.5, v13
	v_add_f32_e32 v64, v66, v76
	v_add_f32_e32 v71, v67, v77
	v_fmac_f32_e32 v66, -0.5, v14
	v_sub_f32_e32 v14, v77, v78
	v_fmac_f32_e32 v67, -0.5, v15
	v_sub_f32_e32 v15, v76, v65
	v_fmamk_f32 v13, v70, 0x3f5db3d7, v69
	v_fmac_f32_e32 v69, 0xbf5db3d7, v70
	v_add_f32_e32 v64, v64, v65
	v_fmamk_f32 v70, v14, 0xbf5db3d7, v66
	v_fmac_f32_e32 v66, 0x3f5db3d7, v14
	v_add_f32_e32 v65, v71, v78
	v_fmamk_f32 v71, v15, 0x3f5db3d7, v67
	v_fmac_f32_e32 v67, 0xbf5db3d7, v15
	s_barrier
	buffer_gl0_inv
	ds_write2_b64 v122, v[2:3], v[4:5] offset1:10
	ds_write_b64 v122, v[0:1] offset:160
	ds_write2_b64 v121, v[6:7], v[8:9] offset1:10
	ds_write_b64 v121, v[74:75] offset:160
	;; [unrolled: 2-line block ×3, first 2 shown]
	s_and_saveexec_b32 s1, vcc_lo
	s_cbranch_execz .LBB0_21
; %bb.20:
	v_mad_u16 v0, v118, 30, v119
	v_mov_b32_e32 v1, 3
	v_lshlrev_b32_sdwa v0, v1, v0 dst_sel:DWORD dst_unused:UNUSED_PAD src0_sel:DWORD src1_sel:WORD_0
	ds_write2_b64 v0, v[64:65], v[70:71] offset1:10
	ds_write_b64 v0, v[66:67] offset:160
.LBB0_21:
	s_or_b32 exec_lo, exec_lo, s1
	v_add_nc_u32_e32 v0, 0xa00, v113
	v_add_nc_u32_e32 v8, 0x2000, v113
	;; [unrolled: 1-line block ×3, first 2 shown]
	s_waitcnt lgkmcnt(0)
	s_barrier
	buffer_gl0_inv
	ds_read2_b64 v[4:7], v113 offset1:162
	ds_read2_b64 v[0:3], v0 offset0:4 offset1:220
	ds_read2_b64 v[12:15], v8 offset0:56 offset1:218
	;; [unrolled: 1-line block ×3, first 2 shown]
	ds_read_b64 v[68:69], v113 offset:11232
	s_and_saveexec_b32 s1, vcc_lo
	s_cbranch_execz .LBB0_23
; %bb.22:
	ds_read_b64 v[64:65], v113 offset:3888
	ds_read_b64 v[70:71], v113 offset:8208
	;; [unrolled: 1-line block ×3, first 2 shown]
.LBB0_23:
	s_or_b32 exec_lo, exec_lo, s1
	s_waitcnt lgkmcnt(3)
	v_mul_f32_e32 v72, v29, v3
	v_mul_f32_e32 v29, v29, v2
	s_waitcnt lgkmcnt(2)
	v_mul_f32_e32 v73, v31, v13
	v_mul_f32_e32 v31, v31, v12
	s_waitcnt lgkmcnt(0)
	v_fmac_f32_e32 v72, v28, v2
	v_fma_f32 v2, v28, v3, -v29
	v_mul_f32_e32 v3, v25, v9
	v_fmac_f32_e32 v73, v30, v12
	v_mul_f32_e32 v12, v25, v8
	v_mul_f32_e32 v25, v27, v15
	v_fma_f32 v13, v30, v13, -v31
	v_fmac_f32_e32 v3, v24, v8
	v_mul_f32_e32 v8, v27, v14
	v_fma_f32 v9, v24, v9, -v12
	v_mul_f32_e32 v12, v21, v11
	v_fmac_f32_e32 v25, v26, v14
	v_mul_f32_e32 v14, v21, v10
	v_fma_f32 v8, v26, v15, -v8
	v_mul_f32_e32 v15, v19, v66
	v_mul_f32_e32 v24, v23, v69
	v_fmac_f32_e32 v12, v20, v10
	v_mul_f32_e32 v10, v23, v68
	v_fma_f32 v11, v20, v11, -v14
	v_mul_f32_e32 v23, v17, v71
	v_mul_f32_e32 v14, v17, v70
	v_fma_f32 v27, v18, v67, -v15
	v_add_f32_e32 v15, v2, v13
	v_sub_f32_e32 v17, v2, v13
	v_add_f32_e32 v2, v5, v2
	v_fmac_f32_e32 v24, v22, v68
	v_fma_f32 v10, v22, v69, -v10
	v_mul_f32_e32 v22, v19, v67
	v_fma_f32 v5, -0.5, v15, v5
	v_add_f32_e32 v15, v2, v13
	v_add_f32_e32 v2, v3, v25
	;; [unrolled: 1-line block ×4, first 2 shown]
	v_sub_f32_e32 v3, v3, v25
	v_fmac_f32_e32 v23, v16, v70
	v_fma_f32 v6, -0.5, v2, v6
	v_sub_f32_e32 v2, v9, v8
	v_add_f32_e32 v9, v7, v9
	v_fmac_f32_e32 v7, -0.5, v19
	v_fma_f32 v26, v16, v71, -v14
	v_add_f32_e32 v14, v72, v73
	v_fmac_f32_e32 v22, v18, v66
	v_fmamk_f32 v20, v2, 0xbf5db3d7, v6
	v_fmac_f32_e32 v6, 0x3f5db3d7, v2
	v_add_f32_e32 v19, v9, v8
	v_add_f32_e32 v2, v12, v24
	v_fmamk_f32 v21, v3, 0x3f5db3d7, v7
	v_fmac_f32_e32 v7, 0xbf5db3d7, v3
	v_add_f32_e32 v3, v11, v10
	v_sub_f32_e32 v9, v11, v10
	v_add_f32_e32 v11, v1, v11
	v_add_f32_e32 v16, v4, v72
	v_fma_f32 v4, -0.5, v14, v4
	v_sub_f32_e32 v18, v72, v73
	v_add_f32_e32 v8, v0, v12
	v_fma_f32 v0, -0.5, v2, v0
	v_fmac_f32_e32 v1, -0.5, v3
	v_sub_f32_e32 v12, v12, v24
	v_add_f32_e32 v3, v11, v10
	v_add_f32_e32 v10, v23, v22
	;; [unrolled: 1-line block ×4, first 2 shown]
	v_fmamk_f32 v16, v17, 0xbf5db3d7, v4
	v_fmac_f32_e32 v4, 0x3f5db3d7, v17
	v_fmamk_f32 v17, v18, 0x3f5db3d7, v5
	v_fmac_f32_e32 v5, 0xbf5db3d7, v18
	v_add_f32_e32 v18, v13, v25
	v_add_f32_e32 v2, v8, v24
	v_fmamk_f32 v8, v9, 0xbf5db3d7, v0
	v_fmac_f32_e32 v0, 0x3f5db3d7, v9
	v_fmamk_f32 v9, v12, 0x3f5db3d7, v1
	v_fmac_f32_e32 v1, 0xbf5db3d7, v12
	v_add_f32_e32 v12, v64, v23
	v_fmac_f32_e32 v64, -0.5, v10
	v_sub_f32_e32 v13, v26, v27
	v_add_f32_e32 v24, v65, v26
	v_fmac_f32_e32 v65, -0.5, v11
	v_sub_f32_e32 v23, v23, v22
	v_add_f32_e32 v12, v12, v22
	v_fmamk_f32 v10, v13, 0xbf5db3d7, v64
	v_fmac_f32_e32 v64, 0x3f5db3d7, v13
	v_add_f32_e32 v13, v24, v27
	v_fmamk_f32 v11, v23, 0x3f5db3d7, v65
	v_fmac_f32_e32 v65, 0xbf5db3d7, v23
	s_barrier
	buffer_gl0_inv
	ds_write2_b64 v126, v[14:15], v[16:17] offset1:30
	ds_write_b64 v126, v[4:5] offset:480
	ds_write2_b64 v125, v[18:19], v[20:21] offset1:30
	ds_write_b64 v125, v[6:7] offset:480
	;; [unrolled: 2-line block ×3, first 2 shown]
	s_and_saveexec_b32 s1, vcc_lo
	s_cbranch_execz .LBB0_25
; %bb.24:
	v_mov_b32_e32 v4, 3
	v_lshlrev_b32_sdwa v4, v4, v123 dst_sel:DWORD dst_unused:UNUSED_PAD src0_sel:DWORD src1_sel:WORD_0
	ds_write2_b64 v4, v[12:13], v[10:11] offset1:30
	ds_write_b64 v4, v[64:65] offset:480
.LBB0_25:
	s_or_b32 exec_lo, exec_lo, s1
	s_waitcnt lgkmcnt(0)
	s_barrier
	buffer_gl0_inv
	ds_read_b64 v[4:5], v113
	ds_read_b64 v[20:21], v113 offset:2160
	ds_read_b64 v[18:19], v113 offset:4320
	;; [unrolled: 1-line block ×5, first 2 shown]
	s_and_saveexec_b32 s1, s0
	s_cbranch_execz .LBB0_27
; %bb.26:
	ds_read_b64 v[2:3], v113 offset:1296
	ds_read_b64 v[8:9], v113 offset:3456
	;; [unrolled: 1-line block ×6, first 2 shown]
.LBB0_27:
	s_or_b32 exec_lo, exec_lo, s1
	s_waitcnt lgkmcnt(4)
	v_mul_f32_e32 v22, v49, v21
	v_mul_f32_e32 v23, v49, v20
	s_waitcnt lgkmcnt(3)
	v_mul_f32_e32 v24, v51, v19
	v_mul_f32_e32 v25, v51, v18
	;; [unrolled: 1-line block ×3, first 2 shown]
	v_fmac_f32_e32 v22, v48, v20
	v_fma_f32 v20, v48, v21, -v23
	s_waitcnt lgkmcnt(2)
	v_mul_f32_e32 v21, v41, v17
	v_fmac_f32_e32 v24, v50, v18
	v_mul_f32_e32 v18, v41, v16
	s_waitcnt lgkmcnt(1)
	v_mul_f32_e32 v23, v43, v15
	v_fma_f32 v19, v50, v19, -v25
	v_fmac_f32_e32 v21, v40, v16
	v_mul_f32_e32 v16, v43, v14
	v_fma_f32 v17, v40, v17, -v18
	s_waitcnt lgkmcnt(0)
	v_mul_f32_e32 v18, v108, v7
	v_fmac_f32_e32 v23, v42, v14
	v_mul_f32_e32 v14, v108, v6
	v_fma_f32 v15, v42, v15, -v16
	v_mul_f32_e32 v16, v37, v9
	v_fmac_f32_e32 v18, v107, v6
	v_mul_f32_e32 v6, v37, v8
	v_fmac_f32_e32 v30, v38, v0
	v_fma_f32 v7, v107, v7, -v14
	v_fmac_f32_e32 v16, v36, v8
	v_mul_f32_e32 v8, v39, v0
	v_fma_f32 v31, v36, v9, -v6
	v_mul_f32_e32 v6, v33, v13
	v_mul_f32_e32 v0, v33, v12
	;; [unrolled: 1-line block ×3, first 2 shown]
	v_fma_f32 v1, v38, v1, -v8
	v_mul_f32_e32 v8, v35, v11
	v_fmac_f32_e32 v6, v32, v12
	v_fma_f32 v32, v32, v13, -v0
	v_mul_f32_e32 v0, v106, v64
	v_fma_f32 v9, v34, v11, -v9
	v_fmac_f32_e32 v8, v34, v10
	v_add_f32_e32 v10, v24, v23
	v_add_f32_e32 v11, v4, v24
	v_fma_f32 v34, v105, v65, -v0
	v_add_f32_e32 v0, v19, v15
	v_add_f32_e32 v12, v5, v19
	v_fma_f32 v4, -0.5, v10, v4
	v_sub_f32_e32 v10, v19, v15
	v_add_f32_e32 v13, v20, v17
	v_fmac_f32_e32 v5, -0.5, v0
	v_sub_f32_e32 v0, v24, v23
	v_add_f32_e32 v25, v12, v15
	v_fmamk_f32 v19, v10, 0xbf5db3d7, v4
	v_fmac_f32_e32 v4, 0x3f5db3d7, v10
	v_add_f32_e32 v10, v17, v7
	v_add_f32_e32 v12, v21, v18
	v_fmamk_f32 v27, v0, 0x3f5db3d7, v5
	v_add_f32_e32 v14, v22, v21
	v_fmac_f32_e32 v5, 0xbf5db3d7, v0
	v_fmac_f32_e32 v20, -0.5, v10
	v_sub_f32_e32 v10, v21, v18
	v_fmac_f32_e32 v22, -0.5, v12
	v_sub_f32_e32 v12, v17, v7
	v_mul_f32_e32 v33, v106, v65
	v_add_f32_e32 v11, v11, v23
	v_fmamk_f32 v0, v10, 0x3f5db3d7, v20
	v_fmac_f32_e32 v20, 0xbf5db3d7, v10
	v_add_f32_e32 v10, v14, v18
	v_fmamk_f32 v14, v12, 0xbf5db3d7, v22
	v_fmac_f32_e32 v22, 0x3f5db3d7, v12
	v_mul_f32_e32 v17, 0xbf5db3d7, v0
	v_mul_f32_e32 v18, 0xbf5db3d7, v20
	v_mul_f32_e32 v0, 0.5, v0
	v_mul_f32_e32 v20, -0.5, v20
	v_add_f32_e32 v7, v13, v7
	v_fmac_f32_e32 v33, v105, v64
	v_fmac_f32_e32 v18, -0.5, v22
	v_fmac_f32_e32 v0, 0x3f5db3d7, v14
	v_fmac_f32_e32 v20, 0x3f5db3d7, v22
	v_fmac_f32_e32 v17, 0.5, v14
	v_add_f32_e32 v12, v11, v10
	v_add_f32_e32 v22, v4, v18
	v_sub_f32_e32 v28, v4, v18
	v_add_f32_e32 v4, v30, v8
	v_add_f32_e32 v13, v25, v7
	;; [unrolled: 1-line block ×3, first 2 shown]
	v_sub_f32_e32 v24, v11, v10
	v_sub_f32_e32 v25, v25, v7
	;; [unrolled: 1-line block ×3, first 2 shown]
	v_add_f32_e32 v0, v2, v30
	v_fmac_f32_e32 v2, -0.5, v4
	v_sub_f32_e32 v4, v1, v9
	v_add_f32_e32 v7, v3, v1
	v_add_f32_e32 v10, v32, v34
	;; [unrolled: 1-line block ×4, first 2 shown]
	v_sub_f32_e32 v26, v19, v17
	v_sub_f32_e32 v29, v5, v20
	v_add_f32_e32 v5, v1, v9
	v_fmamk_f32 v1, v4, 0xbf5db3d7, v2
	v_fmac_f32_e32 v2, 0x3f5db3d7, v4
	v_add_f32_e32 v4, v7, v9
	v_add_f32_e32 v7, v6, v33
	v_add_f32_e32 v17, v31, v32
	v_fmac_f32_e32 v31, -0.5, v10
	v_sub_f32_e32 v9, v6, v33
	v_add_f32_e32 v0, v0, v8
	v_fmac_f32_e32 v3, -0.5, v5
	v_sub_f32_e32 v8, v30, v8
	v_add_f32_e32 v6, v16, v6
	v_fmac_f32_e32 v16, -0.5, v7
	v_sub_f32_e32 v7, v32, v34
	v_fmamk_f32 v10, v9, 0x3f5db3d7, v31
	v_fmac_f32_e32 v31, 0xbf5db3d7, v9
	v_fmamk_f32 v5, v8, 0x3f5db3d7, v3
	v_fmac_f32_e32 v3, 0xbf5db3d7, v8
	;; [unrolled: 2-line block ×3, first 2 shown]
	v_mul_f32_e32 v7, 0xbf5db3d7, v10
	v_mul_f32_e32 v8, 0xbf5db3d7, v31
	v_mul_f32_e32 v9, 0.5, v10
	v_mul_f32_e32 v11, -0.5, v31
	v_add_f32_e32 v6, v6, v33
	v_add_f32_e32 v10, v17, v34
	v_fmac_f32_e32 v7, 0.5, v18
	v_fmac_f32_e32 v8, -0.5, v16
	v_fmac_f32_e32 v9, 0x3f5db3d7, v18
	v_fmac_f32_e32 v11, 0x3f5db3d7, v16
	v_sub_f32_e32 v16, v0, v6
	v_sub_f32_e32 v18, v1, v7
	;; [unrolled: 1-line block ×6, first 2 shown]
	v_add_nc_u32_e32 v30, 0x400, v127
	v_add_nc_u32_e32 v31, 0x800, v127
	s_barrier
	buffer_gl0_inv
	ds_write2_b64 v127, v[12:13], v[14:15] offset1:90
	ds_write2_b64 v30, v[22:23], v[24:25] offset0:52 offset1:142
	ds_write2_b64 v31, v[26:27], v[28:29] offset0:104 offset1:194
	s_and_saveexec_b32 s1, s0
	s_cbranch_execz .LBB0_29
; %bb.28:
	v_mov_b32_e32 v12, 3
	v_add_f32_e32 v3, v3, v11
	v_add_f32_e32 v5, v5, v9
	;; [unrolled: 1-line block ×4, first 2 shown]
	v_lshlrev_b32_sdwa v11, v12, v128 dst_sel:DWORD dst_unused:UNUSED_PAD src0_sel:DWORD src1_sel:WORD_0
	v_add_f32_e32 v4, v1, v7
	v_add_f32_e32 v8, v0, v6
	v_add_nc_u32_e32 v0, 0x400, v11
	v_add_nc_u32_e32 v1, 0x800, v11
	ds_write2_b64 v11, v[8:9], v[4:5] offset1:90
	ds_write2_b64 v0, v[2:3], v[16:17] offset0:52 offset1:142
	ds_write2_b64 v1, v[18:19], v[20:21] offset0:104 offset1:194
.LBB0_29:
	s_or_b32 exec_lo, exec_lo, s1
	v_add_nc_u32_e32 v0, 0xa00, v113
	v_add_nc_u32_e32 v8, 0x2000, v113
	;; [unrolled: 1-line block ×3, first 2 shown]
	s_waitcnt lgkmcnt(0)
	s_barrier
	buffer_gl0_inv
	ds_read2_b64 v[4:7], v113 offset1:162
	ds_read2_b64 v[0:3], v0 offset0:4 offset1:220
	ds_read2_b64 v[12:15], v8 offset0:56 offset1:218
	;; [unrolled: 1-line block ×3, first 2 shown]
	ds_read_b64 v[22:23], v113 offset:11232
	s_and_saveexec_b32 s0, vcc_lo
	s_cbranch_execz .LBB0_31
; %bb.30:
	ds_read_b64 v[16:17], v113 offset:3888
	ds_read_b64 v[18:19], v113 offset:8208
	;; [unrolled: 1-line block ×3, first 2 shown]
.LBB0_31:
	s_or_b32 exec_lo, exec_lo, s0
	s_waitcnt lgkmcnt(3)
	v_mul_f32_e32 v25, v57, v3
	v_mul_f32_e32 v26, v57, v2
	s_waitcnt lgkmcnt(2)
	v_mul_f32_e32 v27, v59, v13
	v_mul_f32_e32 v28, v59, v12
	s_waitcnt lgkmcnt(1)
	v_mul_f32_e32 v29, v53, v11
	v_fmac_f32_e32 v25, v56, v2
	v_fma_f32 v3, v56, v3, -v26
	v_mul_f32_e32 v26, v61, v9
	v_mul_f32_e32 v2, v61, v8
	v_fmac_f32_e32 v27, v58, v12
	v_fma_f32 v12, v58, v13, -v28
	v_mul_f32_e32 v13, v63, v15
	v_fmac_f32_e32 v26, v60, v8
	v_mul_f32_e32 v8, v63, v14
	v_fma_f32 v28, v60, v9, -v2
	v_mul_f32_e32 v2, v53, v10
	v_fmac_f32_e32 v13, v62, v14
	v_fmac_f32_e32 v29, v52, v10
	v_fma_f32 v14, v62, v15, -v8
	s_waitcnt lgkmcnt(0)
	v_mul_f32_e32 v8, v55, v22
	v_fma_f32 v30, v52, v11, -v2
	v_add_f32_e32 v2, v25, v27
	v_mul_f32_e32 v15, v55, v23
	v_add_f32_e32 v9, v4, v25
	v_fma_f32 v23, v54, v23, -v8
	v_add_f32_e32 v8, v3, v12
	v_fma_f32 v2, -0.5, v2, v4
	v_sub_f32_e32 v10, v3, v12
	v_add_f32_e32 v4, v9, v27
	v_add_f32_e32 v9, v5, v3
	v_fma_f32 v3, -0.5, v8, v5
	v_sub_f32_e32 v11, v25, v27
	v_fmamk_f32 v8, v10, 0xbf5db3d7, v2
	v_fmac_f32_e32 v2, 0x3f5db3d7, v10
	v_add_f32_e32 v10, v26, v13
	v_fmac_f32_e32 v15, v54, v22
	v_add_f32_e32 v5, v9, v12
	v_fmamk_f32 v9, v11, 0x3f5db3d7, v3
	v_add_f32_e32 v12, v6, v26
	v_fmac_f32_e32 v3, 0xbf5db3d7, v11
	v_add_f32_e32 v11, v28, v14
	v_fma_f32 v6, -0.5, v10, v6
	v_sub_f32_e32 v22, v28, v14
	v_add_f32_e32 v25, v7, v28
	v_add_f32_e32 v10, v12, v13
	v_fmac_f32_e32 v7, -0.5, v11
	v_sub_f32_e32 v26, v26, v13
	v_fmamk_f32 v12, v22, 0xbf5db3d7, v6
	v_fmac_f32_e32 v6, 0x3f5db3d7, v22
	v_add_f32_e32 v11, v25, v14
	v_add_f32_e32 v14, v29, v15
	v_add_f32_e32 v22, v30, v23
	v_add_f32_e32 v25, v0, v29
	v_add_f32_e32 v27, v1, v30
	v_fmamk_f32 v13, v26, 0x3f5db3d7, v7
	v_fmac_f32_e32 v7, 0xbf5db3d7, v26
	v_fma_f32 v0, -0.5, v14, v0
	v_sub_f32_e32 v26, v30, v23
	v_fmac_f32_e32 v1, -0.5, v22
	v_sub_f32_e32 v28, v29, v15
	v_add_f32_e32 v14, v25, v15
	v_add_f32_e32 v15, v27, v23
	v_fmamk_f32 v22, v26, 0xbf5db3d7, v0
	v_fmac_f32_e32 v0, 0x3f5db3d7, v26
	v_fmamk_f32 v23, v28, 0x3f5db3d7, v1
	v_fmac_f32_e32 v1, 0xbf5db3d7, v28
	ds_write_b64 v113, v[8:9] offset:4320
	ds_write_b64 v113, v[2:3] offset:8640
	ds_write2_b64 v113, v[4:5], v[10:11] offset1:162
	ds_write_b64 v113, v[6:7] offset:9936
	ds_write_b64 v113, v[14:15] offset:2592
	ds_write2_b64 v24, v[12:13], v[22:23] offset0:62 offset1:224
	ds_write_b64 v113, v[0:1] offset:11232
	s_and_saveexec_b32 s0, vcc_lo
	s_cbranch_execz .LBB0_33
; %bb.32:
	v_mul_f32_e32 v0, v45, v18
	v_mul_f32_e32 v1, v47, v20
	;; [unrolled: 1-line block ×4, first 2 shown]
	v_fma_f32 v0, v44, v19, -v0
	v_fma_f32 v3, v46, v21, -v1
	v_fmac_f32_e32 v2, v44, v18
	v_fmac_f32_e32 v4, v46, v20
	v_add_f32_e32 v7, v17, v0
	v_add_f32_e32 v1, v0, v3
	v_sub_f32_e32 v8, v0, v3
	v_add_f32_e32 v5, v2, v4
	v_sub_f32_e32 v6, v2, v4
	v_add_f32_e32 v2, v16, v2
	v_fma_f32 v1, -0.5, v1, v17
	v_add_f32_e32 v3, v7, v3
	v_fma_f32 v0, -0.5, v5, v16
	v_add_f32_e32 v2, v2, v4
	v_fmamk_f32 v5, v6, 0xbf5db3d7, v1
	v_fmac_f32_e32 v1, 0x3f5db3d7, v6
	v_fmamk_f32 v4, v8, 0x3f5db3d7, v0
	v_fmac_f32_e32 v0, 0xbf5db3d7, v8
	ds_write_b64 v113, v[2:3] offset:3888
	ds_write_b64 v113, v[0:1] offset:8208
	;; [unrolled: 1-line block ×3, first 2 shown]
.LBB0_33:
	s_or_b32 exec_lo, exec_lo, s0
	s_waitcnt lgkmcnt(0)
	s_barrier
	buffer_gl0_inv
	ds_read2_b64 v[0:3], v113 offset1:162
	v_add_nc_u32_e32 v4, 0x800, v113
	v_mad_u64_u32 v[12:13], null, s10, v84, 0
	v_mad_u64_u32 v[14:15], null, s8, v114, 0
	ds_read2_b64 v[4:7], v4 offset0:68 offset1:230
	s_mov_b32 s0, 0x30abee4d
	s_mov_b32 s1, 0x3f443a27
	s_mul_i32 s2, s9, 0x510
	s_mul_hi_u32 s3, s8, 0x510
	s_mul_i32 s4, s8, 0x510
	s_add_i32 s3, s3, s2
	s_waitcnt lgkmcnt(1)
	v_mul_f32_e32 v9, v98, v0
	v_mul_f32_e32 v8, v98, v1
	;; [unrolled: 1-line block ×4, first 2 shown]
	v_fma_f32 v1, v97, v1, -v9
	v_fmac_f32_e32 v8, v97, v0
	v_fmac_f32_e32 v10, v99, v2
	v_fma_f32 v2, v99, v3, -v11
	v_mov_b32_e32 v0, v13
	v_cvt_f64_f32_e32 v[18:19], v1
	v_mov_b32_e32 v1, v15
	v_cvt_f64_f32_e32 v[16:17], v8
	v_cvt_f64_f32_e32 v[22:23], v2
	v_add_nc_u32_e32 v2, 0x1400, v113
	v_add_nc_u32_e32 v8, 0x1c00, v113
	v_mad_u64_u32 v[24:25], null, s11, v84, v[0:1]
	s_waitcnt lgkmcnt(0)
	v_mul_f32_e32 v27, v102, v6
	v_mad_u64_u32 v[25:26], null, s9, v114, v[1:2]
	v_mul_f32_e32 v26, v102, v7
	v_cvt_f64_f32_e32 v[20:21], v10
	ds_read2_b64 v[0:3], v2 offset0:8 offset1:170
	ds_read2_b64 v[8:11], v8 offset0:76 offset1:238
	v_mov_b32_e32 v13, v24
	v_mul_f32_e32 v24, v104, v5
	v_fmac_f32_e32 v26, v101, v6
	v_mov_b32_e32 v15, v25
	v_mul_f32_e32 v25, v104, v4
	v_fma_f32 v27, v101, v7, -v27
	v_fmac_f32_e32 v24, v103, v4
	v_lshlrev_b64 v[12:13], 3, v[12:13]
	v_mul_f64 v[18:19], v[18:19], s[0:1]
	v_fma_f32 v25, v103, v5, -v25
	v_mul_f64 v[16:17], v[16:17], s[0:1]
	v_mul_f64 v[22:23], v[22:23], s[0:1]
	v_cvt_f64_f32_e32 v[6:7], v24
	v_lshlrev_b64 v[4:5], 3, v[14:15]
	v_cvt_f64_f32_e32 v[14:15], v25
	v_cvt_f64_f32_e32 v[24:25], v26
	v_add_co_u32 v26, vcc_lo, s12, v12
	v_add_co_ci_u32_e32 v28, vcc_lo, s13, v13, vcc_lo
	v_cvt_f64_f32_e32 v[12:13], v27
	v_add_co_u32 v26, vcc_lo, v26, v4
	v_add_co_ci_u32_e32 v27, vcc_lo, v28, v5, vcc_lo
	s_waitcnt lgkmcnt(1)
	v_mul_f32_e32 v4, v92, v0
	v_add_nc_u32_e32 v5, 0x2800, v113
	v_mul_f64 v[20:21], v[20:21], s[0:1]
	v_mul_f32_e32 v28, v92, v1
	s_waitcnt lgkmcnt(0)
	v_mul_f32_e32 v34, v86, v11
	v_fma_f32 v29, v91, v1, -v4
	v_mul_f32_e32 v30, v94, v3
	v_cvt_f32_f64_e32 v16, v[16:17]
	v_cvt_f32_f64_e32 v17, v[18:19]
	;; [unrolled: 1-line block ×3, first 2 shown]
	v_mul_f64 v[22:23], v[6:7], s[0:1]
	ds_read2_b64 v[4:7], v5 offset0:16 offset1:178
	v_fmac_f32_e32 v28, v91, v0
	v_mul_f32_e32 v31, v94, v2
	v_mul_f32_e32 v32, v88, v9
	;; [unrolled: 1-line block ×3, first 2 shown]
	v_fmac_f32_e32 v34, v85, v10
	v_mul_f32_e32 v10, v86, v10
	v_mul_f64 v[14:15], v[14:15], s[0:1]
	v_mul_f64 v[0:1], v[24:25], s[0:1]
	v_cvt_f64_f32_e32 v[24:25], v28
	v_cvt_f64_f32_e32 v[28:29], v29
	v_fmac_f32_e32 v30, v93, v2
	v_fma_f32 v31, v93, v3, -v31
	v_cvt_f32_f64_e32 v18, v[20:21]
	v_fmac_f32_e32 v32, v87, v8
	v_fma_f32 v33, v87, v9, -v33
	v_fma_f32 v10, v85, v11, -v10
	v_cvt_f64_f32_e32 v[2:3], v30
	v_cvt_f64_f32_e32 v[8:9], v31
	v_mul_f64 v[12:13], v[12:13], s[0:1]
	s_waitcnt lgkmcnt(0)
	v_mul_f32_e32 v36, v90, v5
	v_mul_f32_e32 v37, v90, v4
	;; [unrolled: 1-line block ×4, first 2 shown]
	v_cvt_f64_f32_e32 v[30:31], v32
	v_fmac_f32_e32 v36, v89, v4
	v_fma_f32 v11, v89, v5, -v37
	v_fmac_f32_e32 v38, v95, v6
	v_fma_f32 v39, v95, v7, -v39
	v_cvt_f64_f32_e32 v[32:33], v33
	v_cvt_f64_f32_e32 v[34:35], v34
	;; [unrolled: 1-line block ×7, first 2 shown]
	v_add_co_u32 v20, vcc_lo, v26, s4
	v_add_co_ci_u32_e32 v21, vcc_lo, s3, v27, vcc_lo
	global_store_dwordx2 v[26:27], v[16:17], off
	global_store_dwordx2 v[20:21], v[18:19], off
	v_cvt_f32_f64_e32 v17, v[14:15]
	v_mul_f64 v[14:15], v[24:25], s[0:1]
	v_mul_f64 v[18:19], v[28:29], s[0:1]
	;; [unrolled: 1-line block ×4, first 2 shown]
	v_cvt_f32_f64_e32 v16, v[22:23]
	v_cvt_f32_f64_e32 v0, v[0:1]
	;; [unrolled: 1-line block ×3, first 2 shown]
	v_mul_f64 v[12:13], v[30:31], s[0:1]
	v_mul_f64 v[22:23], v[32:33], s[0:1]
	;; [unrolled: 1-line block ×8, first 2 shown]
	v_add_co_u32 v20, vcc_lo, v20, s4
	v_add_co_ci_u32_e32 v21, vcc_lo, s3, v21, vcc_lo
	v_add_co_u32 v30, vcc_lo, v20, s4
	v_add_co_ci_u32_e32 v31, vcc_lo, s3, v21, vcc_lo
	v_cvt_f32_f64_e32 v14, v[14:15]
	v_cvt_f32_f64_e32 v15, v[18:19]
	v_add_co_u32 v18, vcc_lo, v30, s4
	v_add_co_ci_u32_e32 v19, vcc_lo, s3, v31, vcc_lo
	v_cvt_f32_f64_e32 v2, v[2:3]
	v_cvt_f32_f64_e32 v3, v[8:9]
	;; [unrolled: 4-line block ×3, first 2 shown]
	v_cvt_f32_f64_e32 v22, v[24:25]
	v_cvt_f32_f64_e32 v23, v[4:5]
	;; [unrolled: 1-line block ×6, first 2 shown]
	v_add_co_u32 v10, vcc_lo, v8, s4
	v_add_co_ci_u32_e32 v11, vcc_lo, s3, v9, vcc_lo
	global_store_dwordx2 v[20:21], v[16:17], off
	v_add_co_u32 v16, vcc_lo, v10, s4
	v_add_co_ci_u32_e32 v17, vcc_lo, s3, v11, vcc_lo
	global_store_dwordx2 v[30:31], v[0:1], off
	;; [unrolled: 3-line block ×4, first 2 shown]
	global_store_dwordx2 v[10:11], v[12:13], off
	global_store_dwordx2 v[16:17], v[22:23], off
	;; [unrolled: 1-line block ×4, first 2 shown]
.LBB0_34:
	s_endpgm
	.section	.rodata,"a",@progbits
	.p2align	6, 0x0
	.amdhsa_kernel bluestein_single_fwd_len1620_dim1_sp_op_CI_CI
		.amdhsa_group_segment_fixed_size 12960
		.amdhsa_private_segment_fixed_size 0
		.amdhsa_kernarg_size 104
		.amdhsa_user_sgpr_count 6
		.amdhsa_user_sgpr_private_segment_buffer 1
		.amdhsa_user_sgpr_dispatch_ptr 0
		.amdhsa_user_sgpr_queue_ptr 0
		.amdhsa_user_sgpr_kernarg_segment_ptr 1
		.amdhsa_user_sgpr_dispatch_id 0
		.amdhsa_user_sgpr_flat_scratch_init 0
		.amdhsa_user_sgpr_private_segment_size 0
		.amdhsa_wavefront_size32 1
		.amdhsa_uses_dynamic_stack 0
		.amdhsa_system_sgpr_private_segment_wavefront_offset 0
		.amdhsa_system_sgpr_workgroup_id_x 1
		.amdhsa_system_sgpr_workgroup_id_y 0
		.amdhsa_system_sgpr_workgroup_id_z 0
		.amdhsa_system_sgpr_workgroup_info 0
		.amdhsa_system_vgpr_workitem_id 0
		.amdhsa_next_free_vgpr 162
		.amdhsa_next_free_sgpr 20
		.amdhsa_reserve_vcc 1
		.amdhsa_reserve_flat_scratch 0
		.amdhsa_float_round_mode_32 0
		.amdhsa_float_round_mode_16_64 0
		.amdhsa_float_denorm_mode_32 3
		.amdhsa_float_denorm_mode_16_64 3
		.amdhsa_dx10_clamp 1
		.amdhsa_ieee_mode 1
		.amdhsa_fp16_overflow 0
		.amdhsa_workgroup_processor_mode 1
		.amdhsa_memory_ordered 1
		.amdhsa_forward_progress 0
		.amdhsa_shared_vgpr_count 0
		.amdhsa_exception_fp_ieee_invalid_op 0
		.amdhsa_exception_fp_denorm_src 0
		.amdhsa_exception_fp_ieee_div_zero 0
		.amdhsa_exception_fp_ieee_overflow 0
		.amdhsa_exception_fp_ieee_underflow 0
		.amdhsa_exception_fp_ieee_inexact 0
		.amdhsa_exception_int_div_zero 0
	.end_amdhsa_kernel
	.text
.Lfunc_end0:
	.size	bluestein_single_fwd_len1620_dim1_sp_op_CI_CI, .Lfunc_end0-bluestein_single_fwd_len1620_dim1_sp_op_CI_CI
                                        ; -- End function
	.section	.AMDGPU.csdata,"",@progbits
; Kernel info:
; codeLenInByte = 11720
; NumSgprs: 22
; NumVgprs: 162
; ScratchSize: 0
; MemoryBound: 0
; FloatMode: 240
; IeeeMode: 1
; LDSByteSize: 12960 bytes/workgroup (compile time only)
; SGPRBlocks: 2
; VGPRBlocks: 20
; NumSGPRsForWavesPerEU: 22
; NumVGPRsForWavesPerEU: 162
; Occupancy: 5
; WaveLimiterHint : 1
; COMPUTE_PGM_RSRC2:SCRATCH_EN: 0
; COMPUTE_PGM_RSRC2:USER_SGPR: 6
; COMPUTE_PGM_RSRC2:TRAP_HANDLER: 0
; COMPUTE_PGM_RSRC2:TGID_X_EN: 1
; COMPUTE_PGM_RSRC2:TGID_Y_EN: 0
; COMPUTE_PGM_RSRC2:TGID_Z_EN: 0
; COMPUTE_PGM_RSRC2:TIDIG_COMP_CNT: 0
	.text
	.p2alignl 6, 3214868480
	.fill 48, 4, 3214868480
	.type	__hip_cuid_aa71e13b4d48277d,@object ; @__hip_cuid_aa71e13b4d48277d
	.section	.bss,"aw",@nobits
	.globl	__hip_cuid_aa71e13b4d48277d
__hip_cuid_aa71e13b4d48277d:
	.byte	0                               ; 0x0
	.size	__hip_cuid_aa71e13b4d48277d, 1

	.ident	"AMD clang version 19.0.0git (https://github.com/RadeonOpenCompute/llvm-project roc-6.4.0 25133 c7fe45cf4b819c5991fe208aaa96edf142730f1d)"
	.section	".note.GNU-stack","",@progbits
	.addrsig
	.addrsig_sym __hip_cuid_aa71e13b4d48277d
	.amdgpu_metadata
---
amdhsa.kernels:
  - .args:
      - .actual_access:  read_only
        .address_space:  global
        .offset:         0
        .size:           8
        .value_kind:     global_buffer
      - .actual_access:  read_only
        .address_space:  global
        .offset:         8
        .size:           8
        .value_kind:     global_buffer
      - .actual_access:  read_only
        .address_space:  global
        .offset:         16
        .size:           8
        .value_kind:     global_buffer
      - .actual_access:  read_only
        .address_space:  global
        .offset:         24
        .size:           8
        .value_kind:     global_buffer
      - .actual_access:  read_only
        .address_space:  global
        .offset:         32
        .size:           8
        .value_kind:     global_buffer
      - .offset:         40
        .size:           8
        .value_kind:     by_value
      - .address_space:  global
        .offset:         48
        .size:           8
        .value_kind:     global_buffer
      - .address_space:  global
        .offset:         56
        .size:           8
        .value_kind:     global_buffer
      - .address_space:  global
        .offset:         64
        .size:           8
        .value_kind:     global_buffer
      - .address_space:  global
        .offset:         72
        .size:           8
        .value_kind:     global_buffer
      - .offset:         80
        .size:           4
        .value_kind:     by_value
      - .address_space:  global
        .offset:         88
        .size:           8
        .value_kind:     global_buffer
      - .address_space:  global
        .offset:         96
        .size:           8
        .value_kind:     global_buffer
    .group_segment_fixed_size: 12960
    .kernarg_segment_align: 8
    .kernarg_segment_size: 104
    .language:       OpenCL C
    .language_version:
      - 2
      - 0
    .max_flat_workgroup_size: 162
    .name:           bluestein_single_fwd_len1620_dim1_sp_op_CI_CI
    .private_segment_fixed_size: 0
    .sgpr_count:     22
    .sgpr_spill_count: 0
    .symbol:         bluestein_single_fwd_len1620_dim1_sp_op_CI_CI.kd
    .uniform_work_group_size: 1
    .uses_dynamic_stack: false
    .vgpr_count:     162
    .vgpr_spill_count: 0
    .wavefront_size: 32
    .workgroup_processor_mode: 1
amdhsa.target:   amdgcn-amd-amdhsa--gfx1030
amdhsa.version:
  - 1
  - 2
...

	.end_amdgpu_metadata
